;; amdgpu-corpus repo=ROCm/rocFFT kind=compiled arch=gfx1201 opt=O3
	.text
	.amdgcn_target "amdgcn-amd-amdhsa--gfx1201"
	.amdhsa_code_object_version 6
	.protected	fft_rtc_back_len425_factors_17_5_5_wgs_51_tpt_17_halfLds_dp_op_CI_CI_unitstride_sbrr_dirReg ; -- Begin function fft_rtc_back_len425_factors_17_5_5_wgs_51_tpt_17_halfLds_dp_op_CI_CI_unitstride_sbrr_dirReg
	.globl	fft_rtc_back_len425_factors_17_5_5_wgs_51_tpt_17_halfLds_dp_op_CI_CI_unitstride_sbrr_dirReg
	.p2align	8
	.type	fft_rtc_back_len425_factors_17_5_5_wgs_51_tpt_17_halfLds_dp_op_CI_CI_unitstride_sbrr_dirReg,@function
fft_rtc_back_len425_factors_17_5_5_wgs_51_tpt_17_halfLds_dp_op_CI_CI_unitstride_sbrr_dirReg: ; @fft_rtc_back_len425_factors_17_5_5_wgs_51_tpt_17_halfLds_dp_op_CI_CI_unitstride_sbrr_dirReg
; %bb.0:
	s_load_b128 s[8:11], s[0:1], 0x0
	v_mul_u32_u24_e32 v1, 0xf10, v0
	s_clause 0x1
	s_load_b128 s[4:7], s[0:1], 0x58
	s_load_b128 s[12:15], s[0:1], 0x18
	v_mov_b32_e32 v4, 0
	v_lshrrev_b32_e32 v2, 16, v1
	v_mov_b32_e32 v1, 0
	s_delay_alu instid0(VALU_DEP_2) | instskip(NEXT) | instid1(VALU_DEP_2)
	v_mad_co_u64_u32 v[136:137], null, ttmp9, 3, v[2:3]
	v_mov_b32_e32 v137, v1
	v_mov_b32_e32 v5, 0
	s_delay_alu instid0(VALU_DEP_2) | instskip(SKIP_2) | instid1(VALU_DEP_3)
	v_dual_mov_b32 v149, v137 :: v_dual_mov_b32 v148, v136
	s_wait_kmcnt 0x0
	v_cmp_lt_u64_e64 s2, s[10:11], 2
	v_dual_mov_b32 v157, v5 :: v_dual_mov_b32 v156, v4
	s_delay_alu instid0(VALU_DEP_2)
	s_and_b32 vcc_lo, exec_lo, s2
	s_cbranch_vccnz .LBB0_8
; %bb.1:
	s_load_b64 s[2:3], s[0:1], 0x10
	v_mov_b32_e32 v4, 0
	v_dual_mov_b32 v5, 0 :: v_dual_mov_b32 v6, v136
	v_mov_b32_e32 v7, v137
	s_add_nc_u64 s[16:17], s[14:15], 8
	s_add_nc_u64 s[18:19], s[12:13], 8
	s_delay_alu instid0(VALU_DEP_2)
	v_dual_mov_b32 v157, v5 :: v_dual_mov_b32 v156, v4
	s_mov_b64 s[20:21], 1
	s_wait_kmcnt 0x0
	s_add_nc_u64 s[22:23], s[2:3], 8
	s_mov_b32 s3, 0
.LBB0_2:                                ; =>This Inner Loop Header: Depth=1
	s_load_b64 s[24:25], s[22:23], 0x0
                                        ; implicit-def: $vgpr148_vgpr149
	s_mov_b32 s2, exec_lo
	s_wait_kmcnt 0x0
	v_or_b32_e32 v2, s25, v7
	s_delay_alu instid0(VALU_DEP_1)
	v_cmpx_ne_u64_e32 0, v[1:2]
	s_wait_alu 0xfffe
	s_xor_b32 s26, exec_lo, s2
	s_cbranch_execz .LBB0_4
; %bb.3:                                ;   in Loop: Header=BB0_2 Depth=1
	s_cvt_f32_u32 s2, s24
	s_cvt_f32_u32 s27, s25
	s_sub_nc_u64 s[30:31], 0, s[24:25]
	s_wait_alu 0xfffe
	s_delay_alu instid0(SALU_CYCLE_1) | instskip(SKIP_1) | instid1(SALU_CYCLE_2)
	s_fmamk_f32 s2, s27, 0x4f800000, s2
	s_wait_alu 0xfffe
	v_s_rcp_f32 s2, s2
	s_delay_alu instid0(TRANS32_DEP_1) | instskip(SKIP_1) | instid1(SALU_CYCLE_2)
	s_mul_f32 s2, s2, 0x5f7ffffc
	s_wait_alu 0xfffe
	s_mul_f32 s27, s2, 0x2f800000
	s_wait_alu 0xfffe
	s_delay_alu instid0(SALU_CYCLE_2) | instskip(SKIP_1) | instid1(SALU_CYCLE_2)
	s_trunc_f32 s27, s27
	s_wait_alu 0xfffe
	s_fmamk_f32 s2, s27, 0xcf800000, s2
	s_cvt_u32_f32 s29, s27
	s_wait_alu 0xfffe
	s_delay_alu instid0(SALU_CYCLE_1) | instskip(SKIP_1) | instid1(SALU_CYCLE_2)
	s_cvt_u32_f32 s28, s2
	s_wait_alu 0xfffe
	s_mul_u64 s[34:35], s[30:31], s[28:29]
	s_wait_alu 0xfffe
	s_mul_hi_u32 s37, s28, s35
	s_mul_i32 s36, s28, s35
	s_mul_hi_u32 s2, s28, s34
	s_mul_i32 s33, s29, s34
	s_wait_alu 0xfffe
	s_add_nc_u64 s[36:37], s[2:3], s[36:37]
	s_mul_hi_u32 s27, s29, s34
	s_mul_hi_u32 s38, s29, s35
	s_add_co_u32 s2, s36, s33
	s_wait_alu 0xfffe
	s_add_co_ci_u32 s2, s37, s27
	s_mul_i32 s34, s29, s35
	s_add_co_ci_u32 s35, s38, 0
	s_wait_alu 0xfffe
	s_add_nc_u64 s[34:35], s[2:3], s[34:35]
	s_wait_alu 0xfffe
	v_add_co_u32 v2, s2, s28, s34
	s_delay_alu instid0(VALU_DEP_1) | instskip(SKIP_1) | instid1(VALU_DEP_1)
	s_cmp_lg_u32 s2, 0
	s_add_co_ci_u32 s29, s29, s35
	v_readfirstlane_b32 s28, v2
	s_wait_alu 0xfffe
	s_delay_alu instid0(VALU_DEP_1)
	s_mul_u64 s[30:31], s[30:31], s[28:29]
	s_wait_alu 0xfffe
	s_mul_hi_u32 s35, s28, s31
	s_mul_i32 s34, s28, s31
	s_mul_hi_u32 s2, s28, s30
	s_mul_i32 s33, s29, s30
	s_wait_alu 0xfffe
	s_add_nc_u64 s[34:35], s[2:3], s[34:35]
	s_mul_hi_u32 s27, s29, s30
	s_mul_hi_u32 s28, s29, s31
	s_wait_alu 0xfffe
	s_add_co_u32 s2, s34, s33
	s_add_co_ci_u32 s2, s35, s27
	s_mul_i32 s30, s29, s31
	s_add_co_ci_u32 s31, s28, 0
	s_wait_alu 0xfffe
	s_add_nc_u64 s[30:31], s[2:3], s[30:31]
	s_wait_alu 0xfffe
	v_add_co_u32 v8, s2, v2, s30
	s_delay_alu instid0(VALU_DEP_1) | instskip(SKIP_1) | instid1(VALU_DEP_1)
	s_cmp_lg_u32 s2, 0
	s_add_co_ci_u32 s2, s29, s31
	v_mul_hi_u32 v12, v6, v8
	s_wait_alu 0xfffe
	v_mad_co_u64_u32 v[2:3], null, v6, s2, 0
	v_mad_co_u64_u32 v[8:9], null, v7, v8, 0
	;; [unrolled: 1-line block ×3, first 2 shown]
	s_delay_alu instid0(VALU_DEP_3) | instskip(SKIP_1) | instid1(VALU_DEP_4)
	v_add_co_u32 v2, vcc_lo, v12, v2
	s_wait_alu 0xfffd
	v_add_co_ci_u32_e32 v3, vcc_lo, 0, v3, vcc_lo
	s_delay_alu instid0(VALU_DEP_2) | instskip(SKIP_1) | instid1(VALU_DEP_2)
	v_add_co_u32 v2, vcc_lo, v2, v8
	s_wait_alu 0xfffd
	v_add_co_ci_u32_e32 v2, vcc_lo, v3, v9, vcc_lo
	s_wait_alu 0xfffd
	v_add_co_ci_u32_e32 v3, vcc_lo, 0, v11, vcc_lo
	s_delay_alu instid0(VALU_DEP_2) | instskip(SKIP_1) | instid1(VALU_DEP_2)
	v_add_co_u32 v8, vcc_lo, v2, v10
	s_wait_alu 0xfffd
	v_add_co_ci_u32_e32 v9, vcc_lo, 0, v3, vcc_lo
	s_delay_alu instid0(VALU_DEP_2) | instskip(SKIP_1) | instid1(VALU_DEP_3)
	v_mul_lo_u32 v10, s25, v8
	v_mad_co_u64_u32 v[2:3], null, s24, v8, 0
	v_mul_lo_u32 v11, s24, v9
	s_delay_alu instid0(VALU_DEP_2) | instskip(NEXT) | instid1(VALU_DEP_2)
	v_sub_co_u32 v2, vcc_lo, v6, v2
	v_add3_u32 v3, v3, v11, v10
	s_delay_alu instid0(VALU_DEP_1) | instskip(SKIP_1) | instid1(VALU_DEP_1)
	v_sub_nc_u32_e32 v10, v7, v3
	s_wait_alu 0xfffd
	v_subrev_co_ci_u32_e64 v10, s2, s25, v10, vcc_lo
	v_add_co_u32 v11, s2, v8, 2
	s_wait_alu 0xf1ff
	v_add_co_ci_u32_e64 v12, s2, 0, v9, s2
	v_sub_co_u32 v13, s2, v2, s24
	v_sub_co_ci_u32_e32 v3, vcc_lo, v7, v3, vcc_lo
	s_wait_alu 0xf1ff
	v_subrev_co_ci_u32_e64 v10, s2, 0, v10, s2
	s_delay_alu instid0(VALU_DEP_3) | instskip(NEXT) | instid1(VALU_DEP_3)
	v_cmp_le_u32_e32 vcc_lo, s24, v13
	v_cmp_eq_u32_e64 s2, s25, v3
	s_wait_alu 0xfffd
	v_cndmask_b32_e64 v13, 0, -1, vcc_lo
	v_cmp_le_u32_e32 vcc_lo, s25, v10
	s_wait_alu 0xfffd
	v_cndmask_b32_e64 v14, 0, -1, vcc_lo
	v_cmp_le_u32_e32 vcc_lo, s24, v2
	;; [unrolled: 3-line block ×3, first 2 shown]
	s_wait_alu 0xfffd
	v_cndmask_b32_e64 v15, 0, -1, vcc_lo
	v_cmp_eq_u32_e32 vcc_lo, s25, v10
	s_wait_alu 0xf1ff
	s_delay_alu instid0(VALU_DEP_2)
	v_cndmask_b32_e64 v2, v15, v2, s2
	s_wait_alu 0xfffd
	v_cndmask_b32_e32 v10, v14, v13, vcc_lo
	v_add_co_u32 v13, vcc_lo, v8, 1
	s_wait_alu 0xfffd
	v_add_co_ci_u32_e32 v14, vcc_lo, 0, v9, vcc_lo
	s_delay_alu instid0(VALU_DEP_3) | instskip(SKIP_1) | instid1(VALU_DEP_2)
	v_cmp_ne_u32_e32 vcc_lo, 0, v10
	s_wait_alu 0xfffd
	v_dual_cndmask_b32 v3, v14, v12 :: v_dual_cndmask_b32 v10, v13, v11
	v_cmp_ne_u32_e32 vcc_lo, 0, v2
	s_wait_alu 0xfffd
	s_delay_alu instid0(VALU_DEP_2)
	v_dual_cndmask_b32 v149, v9, v3 :: v_dual_cndmask_b32 v148, v8, v10
.LBB0_4:                                ;   in Loop: Header=BB0_2 Depth=1
	s_wait_alu 0xfffe
	s_and_not1_saveexec_b32 s2, s26
	s_cbranch_execz .LBB0_6
; %bb.5:                                ;   in Loop: Header=BB0_2 Depth=1
	v_cvt_f32_u32_e32 v2, s24
	s_sub_co_i32 s26, 0, s24
	v_mov_b32_e32 v149, v1
	s_delay_alu instid0(VALU_DEP_2) | instskip(NEXT) | instid1(TRANS32_DEP_1)
	v_rcp_iflag_f32_e32 v2, v2
	v_mul_f32_e32 v2, 0x4f7ffffe, v2
	s_delay_alu instid0(VALU_DEP_1) | instskip(SKIP_1) | instid1(VALU_DEP_1)
	v_cvt_u32_f32_e32 v2, v2
	s_wait_alu 0xfffe
	v_mul_lo_u32 v3, s26, v2
	s_delay_alu instid0(VALU_DEP_1) | instskip(NEXT) | instid1(VALU_DEP_1)
	v_mul_hi_u32 v3, v2, v3
	v_add_nc_u32_e32 v2, v2, v3
	s_delay_alu instid0(VALU_DEP_1) | instskip(NEXT) | instid1(VALU_DEP_1)
	v_mul_hi_u32 v2, v6, v2
	v_mul_lo_u32 v3, v2, s24
	v_add_nc_u32_e32 v8, 1, v2
	s_delay_alu instid0(VALU_DEP_2) | instskip(NEXT) | instid1(VALU_DEP_1)
	v_sub_nc_u32_e32 v3, v6, v3
	v_subrev_nc_u32_e32 v9, s24, v3
	v_cmp_le_u32_e32 vcc_lo, s24, v3
	s_wait_alu 0xfffd
	s_delay_alu instid0(VALU_DEP_2) | instskip(NEXT) | instid1(VALU_DEP_1)
	v_dual_cndmask_b32 v3, v3, v9 :: v_dual_cndmask_b32 v2, v2, v8
	v_cmp_le_u32_e32 vcc_lo, s24, v3
	s_delay_alu instid0(VALU_DEP_2) | instskip(SKIP_1) | instid1(VALU_DEP_1)
	v_add_nc_u32_e32 v8, 1, v2
	s_wait_alu 0xfffd
	v_cndmask_b32_e32 v148, v2, v8, vcc_lo
.LBB0_6:                                ;   in Loop: Header=BB0_2 Depth=1
	s_wait_alu 0xfffe
	s_or_b32 exec_lo, exec_lo, s2
	v_mul_lo_u32 v8, v149, s24
	s_delay_alu instid0(VALU_DEP_2)
	v_mul_lo_u32 v9, v148, s25
	s_load_b64 s[26:27], s[18:19], 0x0
	v_mad_co_u64_u32 v[2:3], null, v148, s24, 0
	s_load_b64 s[24:25], s[16:17], 0x0
	s_add_nc_u64 s[20:21], s[20:21], 1
	s_add_nc_u64 s[16:17], s[16:17], 8
	s_wait_alu 0xfffe
	v_cmp_ge_u64_e64 s2, s[20:21], s[10:11]
	s_add_nc_u64 s[18:19], s[18:19], 8
	s_add_nc_u64 s[22:23], s[22:23], 8
	v_add3_u32 v3, v3, v9, v8
	v_sub_co_u32 v2, vcc_lo, v6, v2
	s_wait_alu 0xfffd
	s_delay_alu instid0(VALU_DEP_2) | instskip(SKIP_2) | instid1(VALU_DEP_1)
	v_sub_co_ci_u32_e32 v3, vcc_lo, v7, v3, vcc_lo
	s_and_b32 vcc_lo, exec_lo, s2
	s_wait_kmcnt 0x0
	v_mul_lo_u32 v6, s26, v3
	v_mul_lo_u32 v7, s27, v2
	v_mad_co_u64_u32 v[4:5], null, s26, v2, v[4:5]
	v_mul_lo_u32 v3, s24, v3
	v_mul_lo_u32 v8, s25, v2
	v_mad_co_u64_u32 v[156:157], null, s24, v2, v[156:157]
	s_delay_alu instid0(VALU_DEP_4) | instskip(NEXT) | instid1(VALU_DEP_2)
	v_add3_u32 v5, v7, v5, v6
	v_add3_u32 v157, v8, v157, v3
	s_wait_alu 0xfffe
	s_cbranch_vccnz .LBB0_8
; %bb.7:                                ;   in Loop: Header=BB0_2 Depth=1
	v_dual_mov_b32 v6, v148 :: v_dual_mov_b32 v7, v149
	s_branch .LBB0_2
.LBB0_8:
	s_load_b64 s[0:1], s[0:1], 0x28
	v_mul_hi_u32 v1, 0xf0f0f10, v0
	s_lshl_b64 s[10:11], s[10:11], 3
                                        ; implicit-def: $vgpr162
	s_wait_alu 0xfffe
	s_add_nc_u64 s[2:3], s[14:15], s[10:11]
	s_wait_kmcnt 0x0
	v_cmp_gt_u64_e32 vcc_lo, s[0:1], v[148:149]
	v_cmp_le_u64_e64 s0, s[0:1], v[148:149]
	s_delay_alu instid0(VALU_DEP_1)
	s_and_saveexec_b32 s1, s0
	s_wait_alu 0xfffe
	s_xor_b32 s0, exec_lo, s1
; %bb.9:
	v_mul_u32_u24_e32 v1, 17, v1
                                        ; implicit-def: $vgpr4_vgpr5
	s_delay_alu instid0(VALU_DEP_1)
	v_sub_nc_u32_e32 v162, v0, v1
                                        ; implicit-def: $vgpr1
                                        ; implicit-def: $vgpr0
; %bb.10:
	s_wait_alu 0xfffe
	s_or_saveexec_b32 s1, s0
	s_load_b64 s[2:3], s[2:3], 0x0
                                        ; implicit-def: $vgpr2_vgpr3
	s_clause 0xa
	scratch_store_b128 off, v[0:3], off
	; meta instruction
	scratch_store_b128 off, v[0:3], off offset:16
	; meta instruction
	scratch_store_b128 off, v[0:3], off offset:32
	;; [unrolled: 2-line block ×10, first 2 shown]
                                        ; implicit-def: $vgpr50_vgpr51
                                        ; implicit-def: $vgpr54_vgpr55
                                        ; implicit-def: $vgpr58_vgpr59
                                        ; implicit-def: $vgpr62_vgpr63
                                        ; implicit-def: $vgpr66_vgpr67
                                        ; implicit-def: $vgpr18_vgpr19
                                        ; implicit-def: $vgpr70_vgpr71
                                        ; implicit-def: $vgpr74_vgpr75
                                        ; implicit-def: $vgpr78_vgpr79
                                        ; implicit-def: $vgpr82_vgpr83
                                        ; implicit-def: $vgpr86_vgpr87
                                        ; implicit-def: $vgpr90_vgpr91
                                        ; implicit-def: $vgpr98_vgpr99
                                        ; implicit-def: $vgpr102_vgpr103
                                        ; implicit-def: $vgpr106_vgpr107
                                        ; implicit-def: $vgpr110_vgpr111
                                        ; implicit-def: $vgpr114_vgpr115
                                        ; implicit-def: $vgpr118_vgpr119
                                        ; implicit-def: $vgpr134_vgpr135
                                        ; implicit-def: $vgpr130_vgpr131
                                        ; implicit-def: $vgpr126_vgpr127
                                        ; implicit-def: $vgpr122_vgpr123
                                        ; implicit-def: $vgpr94_vgpr95
	s_xor_b32 exec_lo, exec_lo, s1
	s_cbranch_execz .LBB0_14
; %bb.11:
	s_add_nc_u64 s[10:11], s[12:13], s[10:11]
                                        ; implicit-def: $vgpr16_vgpr17
                                        ; implicit-def: $vgpr64_vgpr65
                                        ; implicit-def: $vgpr60_vgpr61
                                        ; implicit-def: $vgpr56_vgpr57
                                        ; implicit-def: $vgpr52_vgpr53
                                        ; implicit-def: $vgpr48_vgpr49
	s_load_b64 s[10:11], s[10:11], 0x0
	s_wait_kmcnt 0x0
	v_mul_lo_u32 v6, s11, v148
	v_mul_lo_u32 v7, s10, v149
	v_mad_co_u64_u32 v[2:3], null, s10, v148, 0
	s_delay_alu instid0(VALU_DEP_1) | instskip(SKIP_1) | instid1(VALU_DEP_2)
	v_add3_u32 v3, v3, v7, v6
	v_mul_u32_u24_e32 v6, 17, v1
	v_lshlrev_b64_e32 v[1:2], 4, v[2:3]
	v_lshlrev_b64_e32 v[3:4], 4, v[4:5]
	s_delay_alu instid0(VALU_DEP_3) | instskip(NEXT) | instid1(VALU_DEP_3)
	v_sub_nc_u32_e32 v162, v0, v6
	v_add_co_u32 v0, s0, s4, v1
	s_wait_alu 0xf1ff
	s_delay_alu instid0(VALU_DEP_4) | instskip(NEXT) | instid1(VALU_DEP_3)
	v_add_co_ci_u32_e64 v1, s0, s5, v2, s0
	v_lshlrev_b32_e32 v2, 4, v162
	s_delay_alu instid0(VALU_DEP_3) | instskip(SKIP_1) | instid1(VALU_DEP_3)
	v_add_co_u32 v0, s0, v0, v3
	s_wait_alu 0xf1ff
	v_add_co_ci_u32_e64 v1, s0, v1, v4, s0
	s_delay_alu instid0(VALU_DEP_2) | instskip(SKIP_1) | instid1(VALU_DEP_2)
	v_add_co_u32 v2, s0, v0, v2
	s_wait_alu 0xf1ff
	v_add_co_ci_u32_e64 v3, s0, 0, v1, s0
	v_cmp_gt_u32_e64 s0, 8, v162
	s_clause 0x10
	global_load_b128 v[92:95], v[2:3], off
	global_load_b128 v[120:123], v[2:3], off offset:400
	global_load_b128 v[124:127], v[2:3], off offset:800
	;; [unrolled: 1-line block ×16, first 2 shown]
                                        ; implicit-def: $vgpr0_vgpr1
	s_clause 0xa
	scratch_store_b128 off, v[0:3], off offset:160
	; meta instruction
	scratch_store_b128 off, v[0:3], off offset:144
	; meta instruction
	;; [unrolled: 2-line block ×10, first 2 shown]
	scratch_store_b128 off, v[0:3], off
	s_and_saveexec_b32 s4, s0
	s_cbranch_execz .LBB0_13
; %bb.12:
	s_clause 0x6
	global_load_b128 v[16:19], v[2:3], off offset:272
	global_load_b128 v[64:67], v[2:3], off offset:672
	;; [unrolled: 1-line block ×7, first 2 shown]
	s_wait_loadcnt 0x0
	scratch_store_b128 off, v[4:7], off offset:160 ; 16-byte Folded Spill
	global_load_b128 v[4:7], v[2:3], off offset:3072
	s_wait_loadcnt 0x0
	scratch_store_b128 off, v[4:7], off offset:144 ; 16-byte Folded Spill
	global_load_b128 v[4:7], v[2:3], off offset:3472
	;; [unrolled: 3-line block ×8, first 2 shown]
	s_wait_loadcnt 0x0
	scratch_store_b128 off, v[4:7], off offset:32 ; 16-byte Folded Spill
	s_clause 0x1
	global_load_b128 v[4:7], v[2:3], off offset:6272
	global_load_b128 v[0:3], v[2:3], off offset:6672
	s_wait_loadcnt 0x1
	scratch_store_b128 off, v[4:7], off offset:16 ; 16-byte Folded Spill
	s_wait_loadcnt 0x0
	scratch_store_b128 off, v[0:3], off     ; 16-byte Folded Spill
.LBB0_13:
	s_wait_alu 0xfffe
	s_or_b32 exec_lo, exec_lo, s4
.LBB0_14:
	s_delay_alu instid0(SALU_CYCLE_1)
	s_or_b32 exec_lo, exec_lo, s1
	s_wait_loadcnt 0xf
	v_add_f64_e32 v[137:138], v[120:121], v[92:93]
	s_wait_loadcnt 0x0
	v_add_f64_e64 v[139:140], v[122:123], -v[70:71]
	s_mov_b32 s42, 0x5d8e7cdc
	s_mov_b32 s48, 0x2a9d6da3
	;; [unrolled: 1-line block ×14, first 2 shown]
	v_add_f64_e64 v[141:142], v[126:127], -v[74:75]
	v_add_f64_e32 v[143:144], v[68:69], v[120:121]
	s_mov_b32 s53, 0xbfeca52d
	s_mov_b32 s41, 0xbfc7851a
	;; [unrolled: 1-line block ×17, first 2 shown]
	s_wait_alu 0xfffe
	s_mov_b32 s50, s24
	s_mov_b32 s28, s52
	;; [unrolled: 1-line block ×3, first 2 shown]
	v_add_f64_e32 v[137:138], v[124:125], v[137:138]
	v_mul_f64_e32 v[177:178], s[42:43], v[139:140]
	v_mul_f64_e32 v[179:180], s[48:49], v[139:140]
	v_mul_f64_e32 v[181:182], s[44:45], v[139:140]
	v_mul_f64_e32 v[183:184], s[24:25], v[139:140]
	v_mul_f64_e32 v[185:186], s[30:31], v[139:140]
	v_mul_f64_e32 v[189:190], s[36:37], v[139:140]
	v_mul_f64_e32 v[187:188], s[52:53], v[139:140]
	v_mul_f64_e32 v[139:140], s[40:41], v[139:140]
	s_mov_b32 s19, 0xbfe348c8
	s_mov_b32 s21, 0xbfeb34fa
	;; [unrolled: 1-line block ×3, first 2 shown]
	v_add_f64_e32 v[145:146], v[72:73], v[124:125]
	v_add_f64_e64 v[150:151], v[130:131], -v[78:79]
	s_mov_b32 s23, 0xbfef7484
	s_mov_b32 s10, 0x2b2883cd
	v_mul_f64_e32 v[191:192], s[48:49], v[141:142]
	v_mul_f64_e32 v[193:194], s[44:45], v[141:142]
	;; [unrolled: 1-line block ×6, first 2 shown]
	s_wait_alu 0xfffe
	v_mul_f64_e32 v[203:204], s[28:29], v[141:142]
	v_mul_f64_e32 v[141:142], s[38:39], v[141:142]
	s_mov_b32 s11, 0x3fdc86fa
	s_mov_b32 s35, 0x3fe58eea
	;; [unrolled: 1-line block ×5, first 2 shown]
	v_add_f64_e32 v[152:153], v[76:77], v[128:129]
	v_add_f64_e64 v[154:155], v[134:135], -v[82:83]
	s_mov_b32 s47, 0x3fe9895b
	s_mov_b32 s46, s30
	v_add_f64_e32 v[158:159], v[80:81], v[132:133]
	v_add_f64_e64 v[160:161], v[118:119], -v[86:87]
	s_mov_b32 s27, 0x3fefdd0d
	s_mov_b32 s26, s44
	v_add_f64_e32 v[163:164], v[84:85], v[116:117]
	v_add_f64_e32 v[137:138], v[128:129], v[137:138]
	v_fma_f64 v[237:238], v[143:144], s[14:15], v[177:178]
	v_fma_f64 v[177:178], v[143:144], s[14:15], -v[177:178]
	v_fma_f64 v[239:240], v[143:144], s[12:13], v[179:180]
	v_fma_f64 v[241:242], v[143:144], s[4:5], v[181:182]
	v_fma_f64 v[181:182], v[143:144], s[4:5], -v[181:182]
	v_fma_f64 v[243:244], v[143:144], s[16:17], v[183:184]
	v_fma_f64 v[179:180], v[143:144], s[12:13], -v[179:180]
	;; [unrolled: 2-line block ×3, first 2 shown]
	v_fma_f64 v[247:248], v[143:144], s[20:21], v[189:190]
	v_fma_f64 v[249:250], v[143:144], s[22:23], v[139:140]
	v_fma_f64 v[139:140], v[143:144], s[22:23], -v[139:140]
	v_fma_f64 v[189:190], v[143:144], s[20:21], -v[189:190]
	;; [unrolled: 1-line block ×3, first 2 shown]
	s_wait_alu 0xfffe
	v_fma_f64 v[251:252], v[143:144], s[10:11], -v[187:188]
	v_fma_f64 v[143:144], v[143:144], s[10:11], v[187:188]
	v_mul_f64_e32 v[207:208], s[30:31], v[150:151]
	v_mul_f64_e32 v[211:212], s[50:51], v[150:151]
	;; [unrolled: 1-line block ×3, first 2 shown]
	v_fma_f64 v[6:7], v[145:146], s[12:13], v[191:192]
	v_fma_f64 v[191:192], v[145:146], s[12:13], -v[191:192]
	v_fma_f64 v[8:9], v[145:146], s[4:5], v[193:194]
	v_fma_f64 v[10:11], v[145:146], s[4:5], -v[193:194]
	;; [unrolled: 2-line block ×8, first 2 shown]
	v_mul_f64_e32 v[205:206], s[52:53], v[150:151]
	v_mul_f64_e32 v[209:210], s[56:57], v[150:151]
	v_add_f64_e32 v[137:138], v[132:133], v[137:138]
	v_add_f64_e32 v[141:142], v[92:93], v[237:238]
	;; [unrolled: 1-line block ×7, first 2 shown]
	v_mul_f64_e32 v[215:216], s[42:43], v[150:151]
	v_mul_f64_e32 v[217:218], s[44:45], v[150:151]
	;; [unrolled: 1-line block ×3, first 2 shown]
	v_add_f64_e32 v[179:180], v[92:93], v[179:180]
	v_add_f64_e32 v[241:242], v[92:93], v[245:246]
	;; [unrolled: 1-line block ×10, first 2 shown]
	v_mul_f64_e32 v[219:220], s[44:45], v[154:155]
	v_mul_f64_e32 v[225:226], s[38:39], v[154:155]
	;; [unrolled: 1-line block ×3, first 2 shown]
	v_fma_f64 v[32:33], v[152:153], s[18:19], v[207:208]
	v_fma_f64 v[36:37], v[152:153], s[16:17], v[211:212]
	v_fma_f64 v[38:39], v[152:153], s[16:17], -v[211:212]
	v_fma_f64 v[211:212], v[152:153], s[12:13], v[213:214]
	v_mul_f64_e32 v[221:222], s[40:41], v[154:155]
	v_mul_f64_e32 v[223:224], s[50:51], v[154:155]
	;; [unrolled: 1-line block ×4, first 2 shown]
	v_fma_f64 v[34:35], v[152:153], s[18:19], -v[207:208]
	v_mul_f64_e32 v[154:155], s[34:35], v[154:155]
	v_fma_f64 v[213:214], v[152:153], s[12:13], -v[213:214]
	v_add_f64_e64 v[165:166], v[114:115], -v[90:91]
	v_mul_f64_e32 v[253:254], s[52:53], v[160:161]
	v_fma_f64 v[30:31], v[152:153], s[10:11], v[205:206]
	v_fma_f64 v[205:206], v[152:153], s[10:11], -v[205:206]
	v_add_f64_e32 v[137:138], v[116:117], v[137:138]
	v_add_f64_e32 v[6:7], v[6:7], v[141:142]
	;; [unrolled: 1-line block ×7, first 2 shown]
	v_fma_f64 v[40:41], v[152:153], s[14:15], v[215:216]
	v_fma_f64 v[42:43], v[152:153], s[14:15], -v[215:216]
	v_fma_f64 v[215:216], v[152:153], s[4:5], v[217:218]
	v_fma_f64 v[44:45], v[152:153], s[20:21], v[150:151]
	v_fma_f64 v[46:47], v[152:153], s[20:21], -v[150:151]
	v_add_f64_e32 v[10:11], v[10:11], v[179:180]
	v_add_f64_e32 v[20:21], v[20:21], v[241:242]
	;; [unrolled: 1-line block ×6, first 2 shown]
	v_fma_f64 v[217:218], v[152:153], s[4:5], -v[217:218]
	v_add_f64_e32 v[139:140], v[203:204], v[189:190]
	v_fma_f64 v[207:208], v[152:153], s[22:23], v[209:210]
	v_fma_f64 v[209:210], v[152:153], s[22:23], -v[209:210]
	v_add_f64_e32 v[152:153], v[199:200], v[183:184]
	v_add_f64_e32 v[177:178], v[195:196], v[247:248]
	;; [unrolled: 1-line block ×3, first 2 shown]
	v_mul_f64_e32 v[0:1], s[40:41], v[160:161]
	v_fma_f64 v[189:190], v[158:159], s[4:5], v[219:220]
	v_fma_f64 v[191:192], v[158:159], s[4:5], -v[219:220]
	v_fma_f64 v[201:202], v[158:159], s[14:15], v[225:226]
	v_fma_f64 v[203:204], v[158:159], s[14:15], -v[225:226]
	v_fma_f64 v[219:220], v[158:159], s[10:11], v[227:228]
	v_mul_f64_e32 v[2:3], s[26:27], v[160:161]
	v_mul_f64_e32 v[4:5], s[42:43], v[160:161]
	v_fma_f64 v[193:194], v[158:159], s[22:23], v[221:222]
	v_fma_f64 v[195:196], v[158:159], s[22:23], -v[221:222]
	v_fma_f64 v[197:198], v[158:159], s[16:17], v[223:224]
	v_fma_f64 v[199:200], v[158:159], s[16:17], -v[223:224]
	v_fma_f64 v[221:222], v[158:159], s[10:11], -v[227:228]
	v_add_f64_e32 v[137:138], v[112:113], v[137:138]
	v_fma_f64 v[223:224], v[158:159], s[20:21], v[229:230]
	v_fma_f64 v[225:226], v[158:159], s[20:21], -v[229:230]
	v_add_f64_e32 v[8:9], v[32:33], v[8:9]
	v_add_f64_e32 v[12:13], v[36:37], v[12:13]
	;; [unrolled: 1-line block ×4, first 2 shown]
	v_fma_f64 v[227:228], v[158:159], s[18:19], v[231:232]
	v_mul_f64_e32 v[143:144], s[30:31], v[160:161]
	v_fma_f64 v[229:230], v[158:159], s[18:19], -v[231:232]
	v_fma_f64 v[231:232], v[158:159], s[12:13], v[154:155]
	v_fma_f64 v[154:155], v[158:159], s[12:13], -v[154:155]
	v_add_f64_e32 v[10:11], v[34:35], v[10:11]
	v_add_f64_e32 v[20:21], v[40:41], v[20:21]
	v_add_f64_e32 v[22:23], v[42:43], v[22:23]
	v_add_f64_e32 v[34:35], v[215:216], v[150:151]
	v_add_f64_e32 v[24:25], v[44:45], v[24:25]
	v_add_f64_e32 v[26:27], v[46:47], v[26:27]
	v_mul_f64_e32 v[235:236], s[54:55], v[160:161]
	v_add_f64_e32 v[36:37], v[217:218], v[139:140]
	v_mul_f64_e32 v[187:188], s[34:35], v[160:161]
	v_mul_f64_e32 v[233:234], s[24:25], v[160:161]
	v_add_f64_e32 v[38:39], v[213:214], v[152:153]
	v_add_f64_e32 v[40:41], v[209:210], v[177:178]
	v_add_f64_e32 v[6:7], v[30:31], v[6:7]
	v_add_f64_e32 v[44:45], v[207:208], v[92:93]
	v_add_f64_e32 v[30:31], v[205:206], v[141:142]
	v_add_f64_e32 v[167:168], v[88:89], v[112:113]
	v_add_f64_e64 v[169:170], v[110:111], -v[98:99]
	v_mul_f64_e32 v[28:29], s[36:37], v[165:166]
	v_mul_f64_e32 v[179:180], s[26:27], v[165:166]
	v_fma_f64 v[205:206], v[163:164], s[10:11], v[253:254]
	v_fma_f64 v[207:208], v[163:164], s[10:11], -v[253:254]
	v_fma_f64 v[209:210], v[163:164], s[22:23], v[0:1]
	v_mul_f64_e32 v[181:182], s[48:49], v[165:166]
	v_mul_f64_e32 v[183:184], s[40:41], v[165:166]
	v_fma_f64 v[211:212], v[163:164], s[4:5], v[2:3]
	v_fma_f64 v[2:3], v[163:164], s[4:5], -v[2:3]
	v_add_f64_e32 v[137:138], v[108:109], v[137:138]
	v_fma_f64 v[213:214], v[163:164], s[14:15], v[4:5]
	v_mul_f64_e32 v[160:161], s[30:31], v[165:166]
	v_mul_f64_e32 v[249:250], s[50:51], v[165:166]
	v_add_f64_e32 v[12:13], v[201:202], v[12:13]
	v_add_f64_e32 v[14:15], v[203:204], v[14:15]
	;; [unrolled: 1-line block ×3, first 2 shown]
	v_mul_f64_e32 v[251:252], s[42:43], v[165:166]
	v_mul_f64_e32 v[165:166], s[28:29], v[165:166]
	v_fma_f64 v[215:216], v[163:164], s[18:19], v[143:144]
	v_fma_f64 v[143:144], v[163:164], s[18:19], -v[143:144]
	v_fma_f64 v[4:5], v[163:164], s[14:15], -v[4:5]
	;; [unrolled: 1-line block ×3, first 2 shown]
	v_add_f64_e32 v[20:21], v[223:224], v[20:21]
	v_add_f64_e32 v[22:23], v[225:226], v[22:23]
	v_add_f64_e32 v[34:35], v[227:228], v[34:35]
	v_add_f64_e32 v[24:25], v[231:232], v[24:25]
	v_add_f64_e32 v[26:27], v[154:155], v[26:27]
	v_fma_f64 v[158:159], v[163:164], s[20:21], -v[235:236]
	v_add_f64_e32 v[36:37], v[229:230], v[36:37]
	v_fma_f64 v[177:178], v[163:164], s[12:13], v[187:188]
	v_fma_f64 v[187:188], v[163:164], s[12:13], -v[187:188]
	v_add_f64_e32 v[38:39], v[221:222], v[38:39]
	v_add_f64_e32 v[10:11], v[195:196], v[10:11]
	;; [unrolled: 1-line block ×3, first 2 shown]
	v_fma_f64 v[145:146], v[163:164], s[16:17], v[233:234]
	v_add_f64_e32 v[6:7], v[189:190], v[6:7]
	v_fma_f64 v[152:153], v[163:164], s[20:21], v[235:236]
	v_add_f64_e32 v[8:9], v[193:194], v[8:9]
	v_add_f64_e32 v[44:45], v[197:198], v[44:45]
	v_fma_f64 v[150:151], v[163:164], s[16:17], -v[233:234]
	v_add_f64_e32 v[30:31], v[191:192], v[30:31]
	v_add_f64_e32 v[171:172], v[96:97], v[108:109]
	v_add_f64_e64 v[173:174], v[106:107], -v[102:103]
	v_mul_f64_e32 v[139:140], s[42:43], v[169:170]
	v_fma_f64 v[203:204], v[167:168], s[20:21], v[28:29]
	v_fma_f64 v[28:29], v[167:168], s[20:21], -v[28:29]
	v_fma_f64 v[217:218], v[167:168], s[4:5], v[179:180]
	v_add_f64_e32 v[137:138], v[104:105], v[137:138]
	v_mul_f64_e32 v[185:186], s[36:37], v[169:170]
	v_mul_f64_e32 v[141:142], s[40:41], v[169:170]
	;; [unrolled: 1-line block ×3, first 2 shown]
	v_add_f64_e32 v[12:13], v[205:206], v[12:13]
	v_add_f64_e32 v[14:15], v[207:208], v[14:15]
	;; [unrolled: 1-line block ×3, first 2 shown]
	v_fma_f64 v[219:220], v[167:168], s[12:13], v[181:182]
	v_fma_f64 v[221:222], v[167:168], s[22:23], v[183:184]
	v_mul_f64_e32 v[163:164], s[24:25], v[169:170]
	v_fma_f64 v[223:224], v[167:168], s[10:11], v[165:166]
	v_fma_f64 v[165:166], v[167:168], s[10:11], -v[165:166]
	v_fma_f64 v[181:182], v[167:168], s[12:13], -v[181:182]
	v_add_f64_e32 v[20:21], v[211:212], v[20:21]
	v_add_f64_e32 v[2:3], v[2:3], v[22:23]
	;; [unrolled: 1-line block ×5, first 2 shown]
	v_fma_f64 v[183:184], v[167:168], s[22:23], -v[183:184]
	v_add_f64_e32 v[4:5], v[4:5], v[36:37]
	v_fma_f64 v[179:180], v[167:168], s[4:5], -v[179:180]
	v_mul_f64_e32 v[46:47], s[28:29], v[169:170]
	v_add_f64_e32 v[0:1], v[0:1], v[38:39]
	v_mul_f64_e32 v[92:93], s[44:45], v[169:170]
	v_fma_f64 v[197:198], v[167:168], s[16:17], -v[249:250]
	v_fma_f64 v[201:202], v[167:168], s[14:15], -v[251:252]
	v_add_f64_e32 v[10:11], v[158:159], v[10:11]
	v_add_f64_e32 v[34:35], v[187:188], v[40:41]
	v_fma_f64 v[193:194], v[167:168], s[18:19], v[160:161]
	v_add_f64_e32 v[6:7], v[145:146], v[6:7]
	v_fma_f64 v[195:196], v[167:168], s[16:17], v[249:250]
	v_fma_f64 v[199:200], v[167:168], s[14:15], v[251:252]
	v_add_f64_e32 v[8:9], v[152:153], v[8:9]
	v_add_f64_e32 v[38:39], v[177:178], v[44:45]
	v_fma_f64 v[160:161], v[167:168], s[18:19], -v[160:161]
	v_add_f64_e32 v[30:31], v[150:151], v[30:31]
	v_add_f64_e32 v[175:176], v[100:101], v[104:105]
	v_mul_f64_e32 v[189:190], s[38:39], v[173:174]
	v_add_f64_e32 v[137:138], v[100:101], v[137:138]
	v_mul_f64_e32 v[191:192], s[36:37], v[173:174]
	v_mul_f64_e32 v[40:41], s[34:35], v[173:174]
	;; [unrolled: 1-line block ×5, first 2 shown]
	v_fma_f64 v[177:178], v[171:172], s[14:15], v[139:140]
	v_add_f64_e32 v[12:13], v[203:204], v[12:13]
	v_add_f64_e32 v[14:15], v[28:29], v[14:15]
	;; [unrolled: 1-line block ×3, first 2 shown]
	v_fma_f64 v[150:151], v[171:172], s[20:21], v[185:186]
	v_fma_f64 v[152:153], v[171:172], s[20:21], -v[185:186]
	v_fma_f64 v[185:186], v[171:172], s[22:23], v[141:142]
	v_fma_f64 v[187:188], v[171:172], s[12:13], v[154:155]
	v_add_f64_e32 v[20:21], v[219:220], v[20:21]
	v_add_f64_e32 v[22:23], v[221:222], v[22:23]
	v_fma_f64 v[205:206], v[171:172], s[16:17], v[163:164]
	v_fma_f64 v[163:164], v[171:172], s[16:17], -v[163:164]
	v_add_f64_e32 v[24:25], v[223:224], v[24:25]
	v_add_f64_e32 v[26:27], v[165:166], v[26:27]
	v_fma_f64 v[141:142], v[171:172], s[22:23], -v[141:142]
	v_fma_f64 v[154:155], v[171:172], s[12:13], -v[154:155]
	v_add_f64_e32 v[2:3], v[181:182], v[2:3]
	v_add_f64_e32 v[4:5], v[183:184], v[4:5]
	v_fma_f64 v[139:140], v[171:172], s[14:15], -v[139:140]
	v_add_f64_e32 v[0:1], v[179:180], v[0:1]
	v_fma_f64 v[158:159], v[171:172], s[10:11], v[46:47]
	v_fma_f64 v[46:47], v[171:172], s[10:11], -v[46:47]
	v_fma_f64 v[167:168], v[171:172], s[4:5], v[92:93]
	v_fma_f64 v[92:93], v[171:172], s[4:5], -v[92:93]
	v_add_f64_e32 v[10:11], v[197:198], v[10:11]
	v_add_f64_e32 v[32:33], v[201:202], v[34:35]
	;; [unrolled: 1-line block ×4, first 2 shown]
	v_cmp_gt_u32_e64 s0, 8, v162
	v_add_f64_e32 v[30:31], v[160:161], v[30:31]
	v_fma_f64 v[165:166], v[175:176], s[14:15], v[189:190]
	v_add_f64_e32 v[137:138], v[96:97], v[137:138]
	v_fma_f64 v[179:180], v[175:176], s[20:21], -v[191:192]
	v_fma_f64 v[181:182], v[175:176], s[12:13], v[40:41]
	v_fma_f64 v[40:41], v[175:176], s[12:13], -v[40:41]
	v_fma_f64 v[193:194], v[175:176], s[4:5], v[145:146]
	v_fma_f64 v[145:146], v[175:176], s[4:5], -v[145:146]
	v_add_f64_e32 v[28:29], v[177:178], v[28:29]
	v_add_f64_e32 v[20:21], v[185:186], v[20:21]
	;; [unrolled: 1-line block ×12, first 2 shown]
	v_mul_hi_u32 v46, 0xaaaaaaab, v136
	v_add_f64_e32 v[30:31], v[152:153], v[30:31]
	v_add_nc_u32_e32 v150, 17, v162
	v_add_f64_e32 v[42:43], v[88:89], v[137:138]
	v_mul_f64_e32 v[137:138], s[46:47], v[169:170]
	v_mul_f64_e32 v[169:170], s[40:41], v[173:174]
	s_delay_alu instid0(VALU_DEP_4)
	v_mul_u32_u24_e32 v147, 0x88, v150
	v_add_f64_e32 v[24:25], v[193:194], v[24:25]
	v_add_f64_e32 v[26:27], v[145:146], v[26:27]
	;; [unrolled: 1-line block ×5, first 2 shown]
	v_fma_f64 v[160:161], v[175:176], s[22:23], -v[169:170]
	s_delay_alu instid0(VALU_DEP_2)
	v_add_f64_e32 v[36:37], v[80:81], v[42:43]
	v_mul_f64_e32 v[42:43], s[30:31], v[173:174]
	v_fma_f64 v[173:174], v[171:172], s[18:19], v[137:138]
	v_fma_f64 v[137:138], v[171:172], s[18:19], -v[137:138]
	v_fma_f64 v[171:172], v[175:176], s[20:21], v[191:192]
	v_fma_f64 v[191:192], v[175:176], s[16:17], v[143:144]
	v_fma_f64 v[143:144], v[175:176], s[16:17], -v[143:144]
	v_add_f64_e32 v[30:31], v[160:161], v[30:31]
	v_add_f64_e32 v[34:35], v[76:77], v[36:37]
	;; [unrolled: 1-line block ×3, first 2 shown]
	v_fma_f64 v[183:184], v[175:176], s[18:19], v[42:43]
	v_add_f64_e32 v[12:13], v[173:174], v[12:13]
	v_fma_f64 v[38:39], v[175:176], s[22:23], v[169:170]
	v_fma_f64 v[169:170], v[175:176], s[14:15], -v[189:190]
	v_fma_f64 v[189:190], v[175:176], s[10:11], v[44:45]
	v_fma_f64 v[44:45], v[175:176], s[10:11], -v[44:45]
	v_fma_f64 v[42:43], v[175:176], s[18:19], -v[42:43]
	v_add_f64_e32 v[14:15], v[137:138], v[14:15]
	v_add_f64_e32 v[22:23], v[191:192], v[22:23]
	v_add_f64_e32 v[4:5], v[143:144], v[4:5]
	v_add_f64_e32 v[34:35], v[72:73], v[34:35]
	v_add_f64_e32 v[36:37], v[167:168], v[36:37]
	v_add_f64_e32 v[28:29], v[183:184], v[28:29]
	v_add_f64_e32 v[12:13], v[181:182], v[12:13]
	v_add_f64_e32 v[6:7], v[38:39], v[6:7]
	v_add_f64_e32 v[10:11], v[169:170], v[10:11]
	v_add_f64_e32 v[20:21], v[189:190], v[20:21]
	v_add_f64_e32 v[2:3], v[44:45], v[2:3]
	v_add_f64_e32 v[0:1], v[42:43], v[0:1]
	v_add_f64_e32 v[14:15], v[40:41], v[14:15]
	v_lshrrev_b32_e32 v38, 1, v46
	v_mul_u32_u24_e32 v39, 0x88, v162
	s_delay_alu instid0(VALU_DEP_2) | instskip(NEXT) | instid1(VALU_DEP_1)
	v_lshl_add_u32 v38, v38, 1, v38
	v_sub_nc_u32_e32 v38, v136, v38
	s_delay_alu instid0(VALU_DEP_1) | instskip(NEXT) | instid1(VALU_DEP_1)
	v_mul_u32_u24_e32 v38, 0x1a9, v38
	v_lshlrev_b32_e32 v146, 3, v38
	s_delay_alu instid0(VALU_DEP_1)
	v_add3_u32 v151, 0, v39, v146
	v_add_f64_e32 v[34:35], v[68:69], v[34:35]
	v_add_f64_e32 v[36:37], v[171:172], v[36:37]
	ds_store_2addr_b64 v151, v[12:13], v[28:29] offset0:4 offset1:5
	ds_store_2addr_b64 v151, v[20:21], v[22:23] offset0:6 offset1:7
	;; [unrolled: 1-line block ×6, first 2 shown]
	ds_store_2addr_b64 v151, v[34:35], v[6:7] offset1:1
	ds_store_2addr_b64 v151, v[8:9], v[36:37] offset0:2 offset1:3
	ds_store_b64 v151, v[30:31] offset:128
	s_and_saveexec_b32 s1, s0
	s_cbranch_execz .LBB0_16
; %bb.15:
	scratch_load_b128 v[205:208], off, off  ; 16-byte Folded Reload
	s_wait_loadcnt 0x0
	v_add_f64_e64 v[92:93], v[66:67], -v[207:208]
	scratch_load_b128 v[207:210], off, off offset:16 ; 16-byte Folded Reload
	v_add_f64_e32 v[136:137], v[205:206], v[64:65]
	s_delay_alu instid0(VALU_DEP_1) | instskip(NEXT) | instid1(VALU_DEP_1)
	v_mul_f64_e32 v[142:143], s[16:17], v[136:137]
	v_fma_f64 v[0:1], v[92:93], s[24:25], v[142:143]
	s_delay_alu instid0(VALU_DEP_1)
	v_add_f64_e32 v[0:1], v[16:17], v[0:1]
	s_wait_loadcnt 0x0
	v_add_f64_e32 v[140:141], v[207:208], v[60:61]
	v_add_f64_e64 v[138:139], v[62:63], -v[209:210]
	scratch_load_b128 v[209:212], off, off offset:32 ; 16-byte Folded Reload
	v_mul_f64_e32 v[144:145], s[20:21], v[140:141]
	v_mul_f64_e32 v[6:7], s[22:23], v[140:141]
	;; [unrolled: 1-line block ×4, first 2 shown]
	s_delay_alu instid0(VALU_DEP_4) | instskip(NEXT) | instid1(VALU_DEP_4)
	v_fma_f64 v[2:3], v[138:139], s[54:55], v[144:145]
	v_fma_f64 v[8:9], v[138:139], s[40:41], v[6:7]
	s_delay_alu instid0(VALU_DEP_4) | instskip(NEXT) | instid1(VALU_DEP_4)
	v_fma_f64 v[14:15], v[138:139], s[28:29], v[12:13]
	v_fma_f64 v[24:25], v[138:139], s[50:51], v[22:23]
	s_delay_alu instid0(VALU_DEP_4) | instskip(SKIP_1) | instid1(VALU_DEP_1)
	v_add_f64_e32 v[0:1], v[2:3], v[0:1]
	v_mul_f64_e32 v[2:3], s[4:5], v[136:137]
	v_fma_f64 v[4:5], v[92:93], s[44:45], v[2:3]
	v_fma_f64 v[2:3], v[92:93], s[26:27], v[2:3]
	s_delay_alu instid0(VALU_DEP_2) | instskip(NEXT) | instid1(VALU_DEP_2)
	v_add_f64_e32 v[4:5], v[16:17], v[4:5]
	v_add_f64_e32 v[2:3], v[16:17], v[2:3]
	s_delay_alu instid0(VALU_DEP_2) | instskip(SKIP_1) | instid1(VALU_DEP_1)
	v_add_f64_e32 v[4:5], v[8:9], v[4:5]
	v_mul_f64_e32 v[8:9], s[20:21], v[136:137]
	v_fma_f64 v[10:11], v[92:93], s[36:37], v[8:9]
	v_fma_f64 v[8:9], v[92:93], s[54:55], v[8:9]
	s_delay_alu instid0(VALU_DEP_2) | instskip(NEXT) | instid1(VALU_DEP_2)
	v_add_f64_e32 v[10:11], v[16:17], v[10:11]
	v_add_f64_e32 v[8:9], v[16:17], v[8:9]
	s_wait_loadcnt 0x0
	v_add_f64_e64 v[26:27], v[58:59], -v[211:212]
	scratch_load_b128 v[211:214], off, off offset:48 ; 16-byte Folded Reload
	v_add_f64_e32 v[10:11], v[14:15], v[10:11]
	v_mul_f64_e32 v[14:15], s[18:19], v[136:137]
	s_delay_alu instid0(VALU_DEP_1) | instskip(NEXT) | instid1(VALU_DEP_1)
	v_fma_f64 v[20:21], v[92:93], s[30:31], v[14:15]
	v_add_f64_e32 v[20:21], v[16:17], v[20:21]
	s_delay_alu instid0(VALU_DEP_1) | instskip(SKIP_1) | instid1(VALU_DEP_1)
	v_add_f64_e32 v[20:21], v[24:25], v[20:21]
	v_add_f64_e32 v[24:25], v[209:210], v[56:57]
	v_mul_f64_e32 v[28:29], s[12:13], v[24:25]
	s_delay_alu instid0(VALU_DEP_1) | instskip(NEXT) | instid1(VALU_DEP_1)
	v_fma_f64 v[30:31], v[26:27], s[34:35], v[28:29]
	v_add_f64_e32 v[0:1], v[30:31], v[0:1]
	v_mul_f64_e32 v[30:31], s[16:17], v[24:25]
	s_delay_alu instid0(VALU_DEP_1)
	v_fma_f64 v[32:33], v[26:27], s[50:51], v[30:31]
	s_wait_loadcnt 0x0
	v_add_f64_e64 v[38:39], v[54:55], -v[213:214]
	scratch_load_b128 v[213:216], off, off offset:64 ; 16-byte Folded Reload
	v_add_f64_e32 v[4:5], v[32:33], v[4:5]
	v_mul_f64_e32 v[32:33], s[4:5], v[24:25]
	s_delay_alu instid0(VALU_DEP_1) | instskip(NEXT) | instid1(VALU_DEP_1)
	v_fma_f64 v[34:35], v[26:27], s[44:45], v[32:33]
	v_add_f64_e32 v[10:11], v[34:35], v[10:11]
	v_mul_f64_e32 v[34:35], s[14:15], v[24:25]
	s_delay_alu instid0(VALU_DEP_1) | instskip(NEXT) | instid1(VALU_DEP_1)
	v_fma_f64 v[36:37], v[26:27], s[42:43], v[34:35]
	v_add_f64_e32 v[20:21], v[36:37], v[20:21]
	v_add_f64_e32 v[36:37], v[211:212], v[52:53]
	s_delay_alu instid0(VALU_DEP_1) | instskip(NEXT) | instid1(VALU_DEP_1)
	v_mul_f64_e32 v[40:41], s[10:11], v[36:37]
	v_fma_f64 v[42:43], v[38:39], s[52:53], v[40:41]
	s_delay_alu instid0(VALU_DEP_1) | instskip(SKIP_1) | instid1(VALU_DEP_1)
	v_add_f64_e32 v[0:1], v[42:43], v[0:1]
	v_mul_f64_e32 v[42:43], s[14:15], v[36:37]
	v_fma_f64 v[44:45], v[38:39], s[38:39], v[42:43]
	s_wait_loadcnt 0x0
	v_add_f64_e64 v[154:155], v[50:51], -v[215:216]
	s_clause 0x1
	scratch_load_b128 v[215:218], off, off offset:80
	scratch_load_b128 v[231:234], off, off offset:160
	v_add_f64_e32 v[4:5], v[44:45], v[4:5]
	v_mul_f64_e32 v[44:45], s[18:19], v[36:37]
	s_delay_alu instid0(VALU_DEP_1) | instskip(NEXT) | instid1(VALU_DEP_1)
	v_fma_f64 v[46:47], v[38:39], s[46:47], v[44:45]
	v_add_f64_e32 v[10:11], v[46:47], v[10:11]
	v_mul_f64_e32 v[46:47], s[20:21], v[36:37]
	s_delay_alu instid0(VALU_DEP_1) | instskip(NEXT) | instid1(VALU_DEP_1)
	v_fma_f64 v[152:153], v[38:39], s[36:37], v[46:47]
	v_add_f64_e32 v[20:21], v[152:153], v[20:21]
	v_add_f64_e32 v[152:153], v[213:214], v[48:49]
	s_delay_alu instid0(VALU_DEP_1) | instskip(NEXT) | instid1(VALU_DEP_1)
	v_mul_f64_e32 v[158:159], s[22:23], v[152:153]
	v_fma_f64 v[160:161], v[154:155], s[40:41], v[158:159]
	s_delay_alu instid0(VALU_DEP_1)
	v_add_f64_e32 v[0:1], v[160:161], v[0:1]
	v_mul_f64_e32 v[160:161], s[10:11], v[152:153]
	s_wait_loadcnt 0x0
	v_add_f64_e64 v[169:170], v[233:234], -v[217:218]
	s_clause 0x1
	scratch_load_b128 v[217:220], off, off offset:96
	scratch_load_b128 v[227:230], off, off offset:144
	v_fma_f64 v[163:164], v[154:155], s[52:53], v[160:161]
	s_delay_alu instid0(VALU_DEP_1) | instskip(SKIP_1) | instid1(VALU_DEP_1)
	v_add_f64_e32 v[4:5], v[163:164], v[4:5]
	v_mul_f64_e32 v[163:164], s[14:15], v[152:153]
	v_fma_f64 v[165:166], v[154:155], s[42:43], v[163:164]
	s_delay_alu instid0(VALU_DEP_1) | instskip(SKIP_1) | instid1(VALU_DEP_1)
	v_add_f64_e32 v[10:11], v[165:166], v[10:11]
	v_mul_f64_e32 v[165:166], s[4:5], v[152:153]
	v_fma_f64 v[167:168], v[154:155], s[26:27], v[165:166]
	s_delay_alu instid0(VALU_DEP_1) | instskip(SKIP_1) | instid1(VALU_DEP_1)
	v_add_f64_e32 v[20:21], v[167:168], v[20:21]
	v_add_f64_e32 v[167:168], v[215:216], v[231:232]
	v_mul_f64_e32 v[171:172], s[4:5], v[167:168]
	s_delay_alu instid0(VALU_DEP_1)
	v_fma_f64 v[173:174], v[169:170], s[26:27], v[171:172]
	s_wait_loadcnt 0x0
	v_add_f64_e64 v[181:182], v[229:230], -v[219:220]
	s_clause 0x1
	scratch_load_b128 v[219:222], off, off offset:112
	scratch_load_b128 v[223:226], off, off offset:128
	v_add_f64_e32 v[0:1], v[173:174], v[0:1]
	v_mul_f64_e32 v[173:174], s[20:21], v[167:168]
	s_delay_alu instid0(VALU_DEP_1) | instskip(NEXT) | instid1(VALU_DEP_1)
	v_fma_f64 v[175:176], v[169:170], s[36:37], v[173:174]
	v_add_f64_e32 v[4:5], v[175:176], v[4:5]
	v_mul_f64_e32 v[175:176], s[22:23], v[167:168]
	s_delay_alu instid0(VALU_DEP_1) | instskip(NEXT) | instid1(VALU_DEP_1)
	v_fma_f64 v[177:178], v[169:170], s[40:41], v[175:176]
	;; [unrolled: 4-line block ×3, first 2 shown]
	v_add_f64_e32 v[20:21], v[179:180], v[20:21]
	v_add_f64_e32 v[179:180], v[217:218], v[227:228]
	s_delay_alu instid0(VALU_DEP_1) | instskip(NEXT) | instid1(VALU_DEP_1)
	v_mul_f64_e32 v[183:184], s[14:15], v[179:180]
	v_fma_f64 v[185:186], v[181:182], s[42:43], v[183:184]
	s_wait_loadcnt 0x0
	v_add_f64_e64 v[193:194], v[225:226], -v[221:222]
	s_delay_alu instid0(VALU_DEP_2) | instskip(SKIP_1) | instid1(VALU_DEP_1)
	v_add_f64_e32 v[0:1], v[185:186], v[0:1]
	v_mul_f64_e32 v[185:186], s[18:19], v[179:180]
	v_fma_f64 v[187:188], v[181:182], s[46:47], v[185:186]
	s_delay_alu instid0(VALU_DEP_1) | instskip(SKIP_1) | instid1(VALU_DEP_1)
	v_add_f64_e32 v[4:5], v[187:188], v[4:5]
	v_mul_f64_e32 v[187:188], s[12:13], v[179:180]
	v_fma_f64 v[189:190], v[181:182], s[34:35], v[187:188]
	s_delay_alu instid0(VALU_DEP_1) | instskip(SKIP_1) | instid1(VALU_DEP_1)
	;; [unrolled: 4-line block ×3, first 2 shown]
	v_add_f64_e32 v[20:21], v[191:192], v[20:21]
	v_add_f64_e32 v[191:192], v[219:220], v[223:224]
	v_mul_f64_e32 v[195:196], s[18:19], v[191:192]
	s_delay_alu instid0(VALU_DEP_1) | instskip(NEXT) | instid1(VALU_DEP_1)
	v_fma_f64 v[197:198], v[193:194], s[30:31], v[195:196]
	v_add_f64_e32 v[0:1], v[197:198], v[0:1]
	v_mul_f64_e32 v[197:198], s[12:13], v[191:192]
	s_delay_alu instid0(VALU_DEP_1) | instskip(NEXT) | instid1(VALU_DEP_1)
	v_fma_f64 v[199:200], v[193:194], s[34:35], v[197:198]
	;; [unrolled: 4-line block ×4, first 2 shown]
	v_add_f64_e32 v[20:21], v[203:204], v[20:21]
	v_add3_u32 v203, 0, v147, v146
	ds_store_2addr_b64 v203, v[4:5], v[0:1] offset0:4 offset1:5
	ds_store_2addr_b64 v203, v[20:21], v[10:11] offset0:6 offset1:7
	v_mul_f64_e32 v[0:1], s[22:23], v[136:137]
	v_mul_f64_e32 v[10:11], s[14:15], v[140:141]
	s_delay_alu instid0(VALU_DEP_2) | instskip(SKIP_1) | instid1(VALU_DEP_3)
	v_fma_f64 v[4:5], v[92:93], s[56:57], v[0:1]
	v_fma_f64 v[0:1], v[92:93], s[40:41], v[0:1]
	;; [unrolled: 1-line block ×4, first 2 shown]
	s_delay_alu instid0(VALU_DEP_4) | instskip(NEXT) | instid1(VALU_DEP_4)
	v_add_f64_e32 v[4:5], v[16:17], v[4:5]
	v_add_f64_e32 v[0:1], v[16:17], v[0:1]
	s_delay_alu instid0(VALU_DEP_2) | instskip(NEXT) | instid1(VALU_DEP_2)
	v_add_f64_e32 v[4:5], v[20:21], v[4:5]
	v_add_f64_e32 v[0:1], v[10:11], v[0:1]
	v_fma_f64 v[10:11], v[138:139], s[52:53], v[12:13]
	v_fma_f64 v[12:13], v[138:139], s[24:25], v[22:23]
	s_delay_alu instid0(VALU_DEP_2) | instskip(SKIP_1) | instid1(VALU_DEP_1)
	v_add_f64_e32 v[8:9], v[10:11], v[8:9]
	v_fma_f64 v[10:11], v[92:93], s[46:47], v[14:15]
	v_add_f64_e32 v[10:11], v[16:17], v[10:11]
	s_delay_alu instid0(VALU_DEP_1) | instskip(SKIP_1) | instid1(VALU_DEP_1)
	v_add_f64_e32 v[10:11], v[12:13], v[10:11]
	v_mul_f64_e32 v[12:13], s[20:21], v[24:25]
	v_fma_f64 v[14:15], v[26:27], s[54:55], v[12:13]
	v_fma_f64 v[12:13], v[26:27], s[36:37], v[12:13]
	s_delay_alu instid0(VALU_DEP_2) | instskip(NEXT) | instid1(VALU_DEP_2)
	v_add_f64_e32 v[4:5], v[14:15], v[4:5]
	v_add_f64_e32 v[0:1], v[12:13], v[0:1]
	v_fma_f64 v[12:13], v[26:27], s[26:27], v[32:33]
	s_delay_alu instid0(VALU_DEP_1) | instskip(SKIP_1) | instid1(VALU_DEP_1)
	v_add_f64_e32 v[8:9], v[12:13], v[8:9]
	v_fma_f64 v[12:13], v[26:27], s[38:39], v[34:35]
	v_add_f64_e32 v[10:11], v[12:13], v[10:11]
	v_mul_f64_e32 v[12:13], s[12:13], v[36:37]
	s_delay_alu instid0(VALU_DEP_1) | instskip(SKIP_1) | instid1(VALU_DEP_2)
	v_fma_f64 v[14:15], v[38:39], s[48:49], v[12:13]
	v_fma_f64 v[12:13], v[38:39], s[34:35], v[12:13]
	v_add_f64_e32 v[4:5], v[14:15], v[4:5]
	s_delay_alu instid0(VALU_DEP_2) | instskip(SKIP_1) | instid1(VALU_DEP_1)
	v_add_f64_e32 v[0:1], v[12:13], v[0:1]
	v_fma_f64 v[12:13], v[38:39], s[30:31], v[44:45]
	v_add_f64_e32 v[8:9], v[12:13], v[8:9]
	v_fma_f64 v[12:13], v[38:39], s[54:55], v[46:47]
	s_delay_alu instid0(VALU_DEP_1) | instskip(SKIP_1) | instid1(VALU_DEP_1)
	v_add_f64_e32 v[10:11], v[12:13], v[10:11]
	v_mul_f64_e32 v[12:13], s[18:19], v[152:153]
	v_fma_f64 v[14:15], v[154:155], s[46:47], v[12:13]
	v_fma_f64 v[12:13], v[154:155], s[30:31], v[12:13]
	s_delay_alu instid0(VALU_DEP_2) | instskip(NEXT) | instid1(VALU_DEP_2)
	v_add_f64_e32 v[4:5], v[14:15], v[4:5]
	v_add_f64_e32 v[0:1], v[12:13], v[0:1]
	v_fma_f64 v[12:13], v[154:155], s[38:39], v[163:164]
	s_delay_alu instid0(VALU_DEP_1) | instskip(SKIP_1) | instid1(VALU_DEP_1)
	v_add_f64_e32 v[8:9], v[12:13], v[8:9]
	v_fma_f64 v[12:13], v[154:155], s[44:45], v[165:166]
	v_add_f64_e32 v[10:11], v[12:13], v[10:11]
	v_mul_f64_e32 v[12:13], s[10:11], v[167:168]
	s_delay_alu instid0(VALU_DEP_1) | instskip(SKIP_1) | instid1(VALU_DEP_2)
	v_fma_f64 v[14:15], v[169:170], s[52:53], v[12:13]
	v_fma_f64 v[12:13], v[169:170], s[28:29], v[12:13]
	v_add_f64_e32 v[4:5], v[14:15], v[4:5]
	s_delay_alu instid0(VALU_DEP_2) | instskip(SKIP_1) | instid1(VALU_DEP_1)
	v_add_f64_e32 v[0:1], v[12:13], v[0:1]
	v_fma_f64 v[12:13], v[169:170], s[56:57], v[175:176]
	v_add_f64_e32 v[8:9], v[12:13], v[8:9]
	v_fma_f64 v[12:13], v[169:170], s[34:35], v[177:178]
	s_delay_alu instid0(VALU_DEP_1) | instskip(SKIP_1) | instid1(VALU_DEP_1)
	v_add_f64_e32 v[10:11], v[12:13], v[10:11]
	v_mul_f64_e32 v[12:13], s[16:17], v[179:180]
	v_fma_f64 v[14:15], v[181:182], s[50:51], v[12:13]
	v_fma_f64 v[12:13], v[181:182], s[24:25], v[12:13]
	s_delay_alu instid0(VALU_DEP_2) | instskip(NEXT) | instid1(VALU_DEP_2)
	v_add_f64_e32 v[4:5], v[14:15], v[4:5]
	v_add_f64_e32 v[0:1], v[12:13], v[0:1]
	v_fma_f64 v[12:13], v[181:182], s[48:49], v[187:188]
	s_delay_alu instid0(VALU_DEP_1) | instskip(SKIP_1) | instid1(VALU_DEP_1)
	v_add_f64_e32 v[8:9], v[12:13], v[8:9]
	v_fma_f64 v[12:13], v[181:182], s[56:57], v[189:190]
	v_add_f64_e32 v[10:11], v[12:13], v[10:11]
	v_mul_f64_e32 v[12:13], s[4:5], v[191:192]
	s_delay_alu instid0(VALU_DEP_1) | instskip(SKIP_1) | instid1(VALU_DEP_2)
	v_fma_f64 v[14:15], v[193:194], s[44:45], v[12:13]
	v_fma_f64 v[12:13], v[193:194], s[26:27], v[12:13]
	v_add_f64_e32 v[4:5], v[14:15], v[4:5]
	s_delay_alu instid0(VALU_DEP_2) | instskip(SKIP_2) | instid1(VALU_DEP_2)
	v_add_f64_e32 v[0:1], v[12:13], v[0:1]
	v_fma_f64 v[12:13], v[193:194], s[50:51], v[199:200]
	v_mul_f64_e32 v[14:15], s[4:5], v[140:141]
	v_add_f64_e32 v[8:9], v[12:13], v[8:9]
	v_fma_f64 v[12:13], v[193:194], s[52:53], v[201:202]
	s_delay_alu instid0(VALU_DEP_3) | instskip(NEXT) | instid1(VALU_DEP_2)
	v_fma_f64 v[20:21], v[138:139], s[26:27], v[14:15]
	v_add_f64_e32 v[10:11], v[12:13], v[10:11]
	ds_store_2addr_b64 v203, v[0:1], v[4:5] offset0:8 offset1:9
	ds_store_2addr_b64 v203, v[8:9], v[10:11] offset0:10 offset1:11
	v_fma_f64 v[0:1], v[92:93], s[50:51], v[142:143]
	v_fma_f64 v[4:5], v[138:139], s[36:37], v[144:145]
	v_mul_f64_e32 v[8:9], s[18:19], v[140:141]
	s_delay_alu instid0(VALU_DEP_3) | instskip(NEXT) | instid1(VALU_DEP_2)
	v_add_f64_e32 v[0:1], v[16:17], v[0:1]
	v_fma_f64 v[10:11], v[138:139], s[46:47], v[8:9]
	s_delay_alu instid0(VALU_DEP_2) | instskip(SKIP_1) | instid1(VALU_DEP_1)
	v_add_f64_e32 v[0:1], v[4:5], v[0:1]
	v_fma_f64 v[4:5], v[138:139], s[56:57], v[6:7]
	v_add_f64_e32 v[2:3], v[4:5], v[2:3]
	v_mul_f64_e32 v[4:5], s[10:11], v[136:137]
	s_delay_alu instid0(VALU_DEP_1) | instskip(NEXT) | instid1(VALU_DEP_1)
	v_fma_f64 v[6:7], v[92:93], s[28:29], v[4:5]
	v_add_f64_e32 v[6:7], v[16:17], v[6:7]
	s_delay_alu instid0(VALU_DEP_1) | instskip(SKIP_1) | instid1(VALU_DEP_1)
	v_add_f64_e32 v[6:7], v[10:11], v[6:7]
	v_mul_f64_e32 v[10:11], s[12:13], v[136:137]
	v_fma_f64 v[12:13], v[92:93], s[34:35], v[10:11]
	s_delay_alu instid0(VALU_DEP_1) | instskip(NEXT) | instid1(VALU_DEP_1)
	v_add_f64_e32 v[12:13], v[16:17], v[12:13]
	v_add_f64_e32 v[12:13], v[20:21], v[12:13]
	v_fma_f64 v[20:21], v[26:27], s[48:49], v[28:29]
	s_delay_alu instid0(VALU_DEP_1) | instskip(SKIP_1) | instid1(VALU_DEP_1)
	v_add_f64_e32 v[0:1], v[20:21], v[0:1]
	v_fma_f64 v[20:21], v[26:27], s[24:25], v[30:31]
	v_add_f64_e32 v[2:3], v[20:21], v[2:3]
	v_mul_f64_e32 v[20:21], s[22:23], v[24:25]
	s_delay_alu instid0(VALU_DEP_1) | instskip(NEXT) | instid1(VALU_DEP_1)
	v_fma_f64 v[22:23], v[26:27], s[40:41], v[20:21]
	v_add_f64_e32 v[6:7], v[22:23], v[6:7]
	v_mul_f64_e32 v[22:23], s[18:19], v[24:25]
	s_delay_alu instid0(VALU_DEP_1) | instskip(NEXT) | instid1(VALU_DEP_1)
	v_fma_f64 v[28:29], v[26:27], s[46:47], v[22:23]
	v_add_f64_e32 v[12:13], v[28:29], v[12:13]
	v_fma_f64 v[28:29], v[38:39], s[28:29], v[40:41]
	s_delay_alu instid0(VALU_DEP_1) | instskip(SKIP_1) | instid1(VALU_DEP_1)
	v_add_f64_e32 v[0:1], v[28:29], v[0:1]
	v_fma_f64 v[28:29], v[38:39], s[42:43], v[42:43]
	v_add_f64_e32 v[2:3], v[28:29], v[2:3]
	v_mul_f64_e32 v[28:29], s[16:17], v[36:37]
	s_delay_alu instid0(VALU_DEP_1) | instskip(NEXT) | instid1(VALU_DEP_1)
	v_fma_f64 v[30:31], v[38:39], s[24:25], v[28:29]
	v_add_f64_e32 v[6:7], v[30:31], v[6:7]
	v_mul_f64_e32 v[30:31], s[22:23], v[36:37]
	s_delay_alu instid0(VALU_DEP_1) | instskip(NEXT) | instid1(VALU_DEP_1)
	v_fma_f64 v[32:33], v[38:39], s[56:57], v[30:31]
	;; [unrolled: 13-line block ×6, first 2 shown]
	v_add_f64_e32 v[12:13], v[158:159], v[12:13]
	ds_store_2addr_b64 v203, v[0:1], v[2:3] offset0:12 offset1:13
	ds_store_2addr_b64 v203, v[6:7], v[12:13] offset0:14 offset1:15
	v_fma_f64 v[0:1], v[92:93], s[52:53], v[4:5]
	v_fma_f64 v[2:3], v[138:139], s[30:31], v[8:9]
	;; [unrolled: 1-line block ×3, first 2 shown]
	v_mul_f64_e32 v[6:7], s[12:13], v[140:141]
	s_delay_alu instid0(VALU_DEP_4) | instskip(NEXT) | instid1(VALU_DEP_1)
	v_add_f64_e32 v[0:1], v[16:17], v[0:1]
	v_add_f64_e32 v[0:1], v[2:3], v[0:1]
	v_fma_f64 v[2:3], v[92:93], s[48:49], v[10:11]
	s_delay_alu instid0(VALU_DEP_4) | instskip(NEXT) | instid1(VALU_DEP_2)
	v_fma_f64 v[10:11], v[138:139], s[48:49], v[6:7]
	v_add_f64_e32 v[2:3], v[16:17], v[2:3]
	s_delay_alu instid0(VALU_DEP_1) | instskip(SKIP_1) | instid1(VALU_DEP_1)
	v_add_f64_e32 v[2:3], v[4:5], v[2:3]
	v_mul_f64_e32 v[4:5], s[14:15], v[136:137]
	v_fma_f64 v[8:9], v[92:93], s[42:43], v[4:5]
	s_delay_alu instid0(VALU_DEP_1) | instskip(NEXT) | instid1(VALU_DEP_1)
	v_add_f64_e32 v[8:9], v[16:17], v[8:9]
	v_add_f64_e32 v[8:9], v[10:11], v[8:9]
	v_fma_f64 v[10:11], v[26:27], s[56:57], v[20:21]
	s_delay_alu instid0(VALU_DEP_1) | instskip(SKIP_1) | instid1(VALU_DEP_1)
	v_add_f64_e32 v[0:1], v[10:11], v[0:1]
	v_fma_f64 v[10:11], v[26:27], s[30:31], v[22:23]
	v_add_f64_e32 v[2:3], v[10:11], v[2:3]
	v_mul_f64_e32 v[10:11], s[10:11], v[24:25]
	s_delay_alu instid0(VALU_DEP_1) | instskip(NEXT) | instid1(VALU_DEP_1)
	v_fma_f64 v[12:13], v[26:27], s[52:53], v[10:11]
	v_add_f64_e32 v[8:9], v[12:13], v[8:9]
	v_fma_f64 v[12:13], v[38:39], s[50:51], v[28:29]
	s_delay_alu instid0(VALU_DEP_1) | instskip(SKIP_1) | instid1(VALU_DEP_1)
	v_add_f64_e32 v[0:1], v[12:13], v[0:1]
	v_fma_f64 v[12:13], v[38:39], s[40:41], v[30:31]
	v_add_f64_e32 v[2:3], v[12:13], v[2:3]
	v_mul_f64_e32 v[12:13], s[4:5], v[36:37]
	s_delay_alu instid0(VALU_DEP_1) | instskip(NEXT) | instid1(VALU_DEP_1)
	v_fma_f64 v[14:15], v[38:39], s[44:45], v[12:13]
	;; [unrolled: 9-line block ×6, first 2 shown]
	v_add_f64_e32 v[8:9], v[28:29], v[8:9]
	v_add_f64_e32 v[28:29], v[64:65], v[16:17]
	s_delay_alu instid0(VALU_DEP_1) | instskip(NEXT) | instid1(VALU_DEP_1)
	v_add_f64_e32 v[28:29], v[60:61], v[28:29]
	v_add_f64_e32 v[28:29], v[56:57], v[28:29]
	s_delay_alu instid0(VALU_DEP_1) | instskip(NEXT) | instid1(VALU_DEP_1)
	;; [unrolled: 3-line block ×7, first 2 shown]
	v_add_f64_e32 v[28:29], v[209:210], v[28:29]
	v_add_f64_e32 v[28:29], v[207:208], v[28:29]
	s_delay_alu instid0(VALU_DEP_1)
	v_add_f64_e32 v[28:29], v[205:206], v[28:29]
	ds_store_2addr_b64 v203, v[2:3], v[0:1] offset0:2 offset1:3
	ds_store_2addr_b64 v203, v[28:29], v[8:9] offset1:1
	v_fma_f64 v[0:1], v[92:93], s[38:39], v[4:5]
	v_fma_f64 v[2:3], v[138:139], s[34:35], v[6:7]
	v_fma_f64 v[4:5], v[26:27], s[28:29], v[10:11]
	s_delay_alu instid0(VALU_DEP_3) | instskip(NEXT) | instid1(VALU_DEP_1)
	v_add_f64_e32 v[0:1], v[16:17], v[0:1]
	v_add_f64_e32 v[0:1], v[2:3], v[0:1]
	v_fma_f64 v[2:3], v[38:39], s[26:27], v[12:13]
	s_delay_alu instid0(VALU_DEP_2) | instskip(SKIP_1) | instid1(VALU_DEP_2)
	v_add_f64_e32 v[0:1], v[4:5], v[0:1]
	v_fma_f64 v[4:5], v[154:155], s[50:51], v[14:15]
	v_add_f64_e32 v[0:1], v[2:3], v[0:1]
	v_fma_f64 v[2:3], v[169:170], s[46:47], v[20:21]
	s_delay_alu instid0(VALU_DEP_2) | instskip(SKIP_1) | instid1(VALU_DEP_2)
	v_add_f64_e32 v[0:1], v[4:5], v[0:1]
	v_fma_f64 v[4:5], v[181:182], s[54:55], v[22:23]
	v_add_f64_e32 v[0:1], v[2:3], v[0:1]
	v_fma_f64 v[2:3], v[193:194], s[56:57], v[24:25]
	s_delay_alu instid0(VALU_DEP_2) | instskip(NEXT) | instid1(VALU_DEP_1)
	v_add_f64_e32 v[0:1], v[4:5], v[0:1]
	v_add_f64_e32 v[0:1], v[2:3], v[0:1]
	ds_store_b64 v203, v[0:1] offset:128
.LBB0_16:
	s_wait_alu 0xfffe
	s_or_b32 exec_lo, exec_lo, s1
	v_add_f64_e32 v[0:1], v[122:123], v[94:95]
	v_add_f64_e64 v[2:3], v[120:121], -v[68:69]
	v_add_f64_e64 v[4:5], v[124:125], -v[72:73]
	v_add_f64_e32 v[10:11], v[70:71], v[122:123]
	v_add_f64_e64 v[6:7], v[128:129], -v[76:77]
	v_add_f64_e64 v[8:9], v[132:133], -v[80:81]
	;; [unrolled: 3-line block ×3, first 2 shown]
	v_add_f64_e64 v[34:35], v[108:109], -v[96:97]
	v_add_f64_e32 v[14:15], v[78:79], v[130:131]
	v_add_f64_e32 v[28:29], v[98:99], v[110:111]
	v_add_f64_e64 v[44:45], v[104:105], -v[100:101]
	v_add_f64_e32 v[24:25], v[90:91], v[114:115]
	v_add_f64_e32 v[16:17], v[82:83], v[134:135]
	;; [unrolled: 1-line block ×4, first 2 shown]
	global_wb scope:SCOPE_SE
	s_wait_storecnt_dscnt 0x0
	s_wait_kmcnt 0x0
	s_barrier_signal -1
	s_barrier_wait -1
	global_inv scope:SCOPE_SE
	v_add_f64_e32 v[0:1], v[126:127], v[0:1]
	v_mul_f64_e32 v[30:31], s[42:43], v[2:3]
	v_mul_f64_e32 v[32:33], s[48:49], v[2:3]
	;; [unrolled: 1-line block ×31, first 2 shown]
	v_add_f64_e32 v[0:1], v[130:131], v[0:1]
	v_fma_f64 v[136:137], v[10:11], s[14:15], -v[30:31]
	v_fma_f64 v[138:139], v[10:11], s[12:13], -v[32:33]
	v_fma_f64 v[32:33], v[10:11], s[12:13], v[32:33]
	v_fma_f64 v[140:141], v[10:11], s[4:5], -v[36:37]
	v_fma_f64 v[36:37], v[10:11], s[4:5], v[36:37]
	v_fma_f64 v[142:143], v[10:11], s[16:17], -v[40:41]
	v_fma_f64 v[144:145], v[10:11], s[18:19], -v[42:43]
	v_fma_f64 v[42:43], v[10:11], s[18:19], v[42:43]
	v_fma_f64 v[152:153], v[10:11], s[20:21], -v[46:47]
	v_fma_f64 v[154:155], v[10:11], s[22:23], -v[68:69]
	v_fma_f64 v[68:69], v[10:11], s[22:23], v[68:69]
	v_fma_f64 v[46:47], v[10:11], s[20:21], v[46:47]
	;; [unrolled: 1-line block ×4, first 2 shown]
	v_fma_f64 v[2:3], v[10:11], s[10:11], -v[2:3]
	v_fma_f64 v[10:11], v[10:11], s[14:15], v[30:31]
	v_fma_f64 v[167:168], v[12:13], s[12:13], -v[72:73]
	v_fma_f64 v[72:73], v[12:13], s[12:13], v[72:73]
	;; [unrolled: 2-line block ×9, first 2 shown]
	v_mul_f64_e32 v[130:131], s[46:47], v[8:9]
	v_fma_f64 v[187:188], v[14:15], s[18:19], -v[104:105]
	v_fma_f64 v[104:105], v[14:15], s[18:19], v[104:105]
	v_fma_f64 v[193:194], v[14:15], s[12:13], -v[112:113]
	v_fma_f64 v[185:186], v[14:15], s[10:11], -v[100:101]
	v_add_f64_e32 v[0:1], v[134:135], v[0:1]
	v_add_f64_e32 v[12:13], v[94:95], v[136:137]
	;; [unrolled: 1-line block ×17, first 2 shown]
	v_fma_f64 v[100:101], v[14:15], s[10:11], v[100:101]
	v_fma_f64 v[189:190], v[14:15], s[22:23], -v[108:109]
	v_fma_f64 v[108:109], v[14:15], s[22:23], v[108:109]
	v_fma_f64 v[112:113], v[14:15], s[12:13], v[112:113]
	v_fma_f64 v[197:198], v[14:15], s[4:5], -v[116:117]
	v_fma_f64 v[116:117], v[14:15], s[4:5], v[116:117]
	v_mul_f64_e32 v[134:135], s[54:55], v[22:23]
	v_mul_f64_e32 v[30:31], s[34:35], v[22:23]
	;; [unrolled: 1-line block ×4, first 2 shown]
	v_add_f64_e32 v[0:1], v[118:119], v[0:1]
	v_mul_f64_e32 v[118:119], s[44:45], v[8:9]
	v_mul_f64_e32 v[8:9], s[34:35], v[8:9]
	v_add_f64_e32 v[32:33], v[76:77], v[32:33]
	v_add_f64_e32 v[76:77], v[173:174], v[138:139]
	;; [unrolled: 1-line block ×14, first 2 shown]
	v_fma_f64 v[140:141], v[16:17], s[22:23], -v[120:121]
	v_fma_f64 v[120:121], v[16:17], s[22:23], v[120:121]
	v_fma_f64 v[144:145], v[16:17], s[14:15], -v[124:125]
	v_fma_f64 v[124:125], v[16:17], s[14:15], v[124:125]
	;; [unrolled: 2-line block ×5, first 2 shown]
	v_mul_f64_e32 v[72:73], s[26:27], v[26:27]
	v_mul_f64_e32 v[80:81], s[48:49], v[26:27]
	;; [unrolled: 1-line block ×3, first 2 shown]
	v_fma_f64 v[171:172], v[20:21], s[4:5], -v[163:164]
	v_fma_f64 v[163:164], v[20:21], s[4:5], v[163:164]
	v_fma_f64 v[173:174], v[20:21], s[14:15], -v[165:166]
	v_fma_f64 v[165:166], v[20:21], s[14:15], v[165:166]
	v_mul_f64_e32 v[96:97], s[36:37], v[34:35]
	v_add_f64_e32 v[0:1], v[114:115], v[0:1]
	v_mul_f64_e32 v[114:115], s[42:43], v[6:7]
	v_add_f64_e32 v[12:13], v[185:186], v[12:13]
	v_add_f64_e32 v[92:93], v[197:198], v[92:93]
	;; [unrolled: 1-line block ×3, first 2 shown]
	v_fma_f64 v[112:113], v[20:21], s[16:17], -v[132:133]
	v_add_f64_e32 v[2:3], v[189:190], v[2:3]
	v_add_f64_e32 v[10:11], v[100:101], v[10:11]
	v_mul_f64_e32 v[100:101], s[46:47], v[34:35]
	v_add_f64_e32 v[0:1], v[110:111], v[0:1]
	v_mul_f64_e32 v[110:111], s[50:51], v[6:7]
	v_mul_f64_e32 v[6:7], s[36:37], v[6:7]
	v_fma_f64 v[195:196], v[14:15], s[14:15], -v[114:115]
	v_fma_f64 v[114:115], v[14:15], s[14:15], v[114:115]
	v_add_f64_e32 v[0:1], v[106:107], v[0:1]
	v_fma_f64 v[191:192], v[14:15], s[16:17], -v[110:111]
	v_fma_f64 v[110:111], v[14:15], s[16:17], v[110:111]
	v_fma_f64 v[199:200], v[14:15], s[20:21], -v[6:7]
	v_fma_f64 v[6:7], v[14:15], s[20:21], v[6:7]
	v_add_f64_e32 v[14:15], v[169:170], v[136:137]
	v_add_f64_e32 v[136:137], v[177:178], v[142:143]
	v_mul_f64_e32 v[106:107], s[52:53], v[22:23]
	v_mul_f64_e32 v[22:23], s[30:31], v[22:23]
	v_fma_f64 v[142:143], v[16:17], s[16:17], -v[122:123]
	v_fma_f64 v[122:123], v[16:17], s[16:17], v[122:123]
	v_fma_f64 v[169:170], v[16:17], s[12:13], -v[8:9]
	v_fma_f64 v[8:9], v[16:17], s[12:13], v[8:9]
	v_add_f64_e32 v[42:43], v[114:115], v[42:43]
	v_fma_f64 v[114:115], v[20:21], s[16:17], v[132:133]
	v_fma_f64 v[132:133], v[20:21], s[20:21], v[134:135]
	v_add_f64_e32 v[0:1], v[102:103], v[0:1]
	v_mul_f64_e32 v[102:103], s[50:51], v[26:27]
	v_add_f64_e32 v[36:37], v[110:111], v[36:37]
	v_mul_f64_e32 v[26:27], s[28:29], v[26:27]
	v_add_f64_e32 v[4:5], v[6:7], v[4:5]
	v_add_f64_e32 v[6:7], v[116:117], v[46:47]
	;; [unrolled: 1-line block ×4, first 2 shown]
	v_fma_f64 v[116:117], v[20:21], s[20:21], -v[134:135]
	v_fma_f64 v[134:135], v[20:21], s[12:13], -v[30:31]
	v_fma_f64 v[30:31], v[20:21], s[12:13], v[30:31]
	v_fma_f64 v[175:176], v[20:21], s[18:19], -v[22:23]
	v_add_f64_e32 v[2:3], v[142:143], v[2:3]
	v_add_f64_e32 v[42:43], v[128:129], v[42:43]
	v_mul_f64_e32 v[108:109], s[42:43], v[34:35]
	v_fma_f64 v[128:129], v[24:25], s[20:21], v[183:184]
	v_fma_f64 v[142:143], v[24:25], s[22:23], -v[88:89]
	v_fma_f64 v[88:89], v[24:25], s[22:23], v[88:89]
	v_mul_f64_e32 v[68:69], s[28:29], v[34:35]
	v_mul_f64_e32 v[110:111], s[40:41], v[34:35]
	v_add_f64_e32 v[0:1], v[98:99], v[0:1]
	v_fma_f64 v[98:99], v[16:17], s[4:5], -v[118:119]
	v_fma_f64 v[118:119], v[16:17], s[4:5], v[118:119]
	v_add_f64_e32 v[16:17], v[104:105], v[32:33]
	v_add_f64_e32 v[32:33], v[191:192], v[76:77]
	v_add_f64_e32 v[76:77], v[193:194], v[84:85]
	v_add_f64_e32 v[84:85], v[195:196], v[136:137]
	v_add_f64_e32 v[104:105], v[199:200], v[138:139]
	v_fma_f64 v[136:137], v[20:21], s[10:11], -v[106:107]
	v_fma_f64 v[106:107], v[20:21], s[10:11], v[106:107]
	v_fma_f64 v[138:139], v[20:21], s[22:23], -v[160:161]
	v_fma_f64 v[160:161], v[20:21], s[22:23], v[160:161]
	v_fma_f64 v[20:21], v[20:21], s[18:19], v[22:23]
	v_add_f64_e32 v[4:5], v[8:9], v[4:5]
	v_add_f64_e32 v[6:7], v[130:131], v[6:7]
	;; [unrolled: 1-line block ×5, first 2 shown]
	v_fma_f64 v[122:123], v[24:25], s[14:15], -v[158:159]
	v_fma_f64 v[126:127], v[24:25], s[20:21], -v[183:184]
	;; [unrolled: 1-line block ×3, first 2 shown]
	v_fma_f64 v[72:73], v[24:25], s[4:5], v[72:73]
	v_fma_f64 v[140:141], v[24:25], s[12:13], -v[80:81]
	v_fma_f64 v[80:81], v[24:25], s[12:13], v[80:81]
	v_mul_f64_e32 v[46:47], s[34:35], v[34:35]
	v_add_f64_e32 v[42:43], v[163:164], v[42:43]
	v_add_f64_e32 v[2:3], v[134:135], v[2:3]
	v_fma_f64 v[134:135], v[28:29], s[22:23], -v[110:111]
	v_fma_f64 v[110:111], v[28:29], s[22:23], v[110:111]
	v_add_f64_e32 v[0:1], v[90:91], v[0:1]
	v_add_f64_e32 v[12:13], v[98:99], v[12:13]
	;; [unrolled: 1-line block ×10, first 2 shown]
	v_fma_f64 v[118:119], v[24:25], s[18:19], -v[94:95]
	v_fma_f64 v[94:95], v[24:25], s[18:19], v[94:95]
	v_fma_f64 v[120:121], v[24:25], s[16:17], -v[102:103]
	v_fma_f64 v[102:103], v[24:25], s[16:17], v[102:103]
	v_fma_f64 v[124:125], v[24:25], s[14:15], v[158:159]
	v_fma_f64 v[144:145], v[24:25], s[10:11], -v[26:27]
	v_fma_f64 v[24:25], v[24:25], s[10:11], v[26:27]
	v_mul_f64_e32 v[90:91], s[44:45], v[34:35]
	v_mul_f64_e32 v[34:35], s[24:25], v[34:35]
	v_add_f64_e32 v[4:5], v[20:21], v[4:5]
	v_add_f64_e32 v[6:7], v[165:166], v[6:7]
	;; [unrolled: 1-line block ×5, first 2 shown]
	v_mul_f64_e32 v[30:31], s[34:35], v[44:45]
	v_mul_f64_e32 v[40:41], s[30:31], v[44:45]
	v_fma_f64 v[116:117], v[28:29], s[18:19], -v[100:101]
	v_mul_f64_e32 v[98:99], s[38:39], v[44:45]
	v_fma_f64 v[100:101], v[28:29], s[18:19], v[100:101]
	v_mul_f64_e32 v[104:105], s[36:37], v[44:45]
	v_add_f64_e32 v[2:3], v[122:123], v[2:3]
	v_add_f64_e32 v[0:1], v[86:87], v[0:1]
	;; [unrolled: 1-line block ×11, first 2 shown]
	v_fma_f64 v[132:133], v[28:29], s[14:15], -v[108:109]
	v_mul_f64_e32 v[92:93], s[24:25], v[44:45]
	v_fma_f64 v[106:107], v[28:29], s[20:21], -v[96:97]
	v_fma_f64 v[96:97], v[28:29], s[20:21], v[96:97]
	v_fma_f64 v[112:113], v[28:29], s[10:11], -v[68:69]
	v_fma_f64 v[68:69], v[28:29], s[10:11], v[68:69]
	v_fma_f64 v[108:109], v[28:29], s[14:15], v[108:109]
	v_fma_f64 v[114:115], v[28:29], s[4:5], -v[90:91]
	v_fma_f64 v[90:91], v[28:29], s[4:5], v[90:91]
	v_fma_f64 v[136:137], v[28:29], s[12:13], -v[46:47]
	;; [unrolled: 2-line block ×3, first 2 shown]
	v_fma_f64 v[28:29], v[28:29], s[16:17], v[34:35]
	v_mul_f64_e32 v[86:87], s[40:41], v[44:45]
	v_add_f64_e32 v[4:5], v[24:25], v[4:5]
	v_add_f64_e32 v[6:7], v[88:89], v[6:7]
	v_add_f64_e32 v[8:9], v[72:73], v[8:9]
	v_add_f64_e32 v[20:21], v[124:125], v[20:21]
	v_add_f64_e32 v[14:15], v[120:121], v[14:15]
	v_fma_f64 v[88:89], v[38:39], s[12:13], -v[30:31]
	v_fma_f64 v[30:31], v[38:39], s[12:13], v[30:31]
	v_add_f64_e32 v[0:1], v[82:83], v[0:1]
	v_mul_f64_e32 v[82:83], s[28:29], v[44:45]
	v_mul_f64_e32 v[44:45], s[26:27], v[44:45]
	v_add_f64_e32 v[12:13], v[118:119], v[12:13]
	v_add_f64_e32 v[22:23], v[126:127], v[22:23]
	;; [unrolled: 1-line block ×10, first 2 shown]
	v_fma_f64 v[94:95], v[38:39], s[18:19], -v[40:41]
	v_fma_f64 v[80:81], v[38:39], s[14:15], v[98:99]
	v_fma_f64 v[102:103], v[38:39], s[16:17], -v[92:93]
	v_fma_f64 v[84:85], v[38:39], s[20:21], -v[104:105]
	v_fma_f64 v[40:41], v[38:39], s[18:19], v[40:41]
	v_fma_f64 v[92:93], v[38:39], s[16:17], v[92:93]
	v_add_f64_e32 v[2:3], v[114:115], v[2:3]
	v_fma_f64 v[24:25], v[38:39], s[22:23], -v[86:87]
	v_fma_f64 v[72:73], v[38:39], s[22:23], v[86:87]
	v_fma_f64 v[86:87], v[38:39], s[20:21], v[104:105]
	v_add_f64_e32 v[4:5], v[28:29], v[4:5]
	v_add_f64_e32 v[6:7], v[46:47], v[6:7]
	;; [unrolled: 1-line block ×5, first 2 shown]
	v_lshlrev_b32_e32 v46, 3, v162
	s_delay_alu instid0(VALU_DEP_1)
	v_add3_u32 v163, 0, v146, v46
	v_add3_u32 v164, 0, v46, v146
	v_add_f64_e32 v[0:1], v[78:79], v[0:1]
	v_fma_f64 v[78:79], v[38:39], s[14:15], -v[98:99]
	v_fma_f64 v[98:99], v[38:39], s[10:11], -v[82:83]
	v_fma_f64 v[82:83], v[38:39], s[10:11], v[82:83]
	v_add_f64_e32 v[22:23], v[116:117], v[22:23]
	v_add_f64_e32 v[26:27], v[100:101], v[26:27]
	;; [unrolled: 1-line block ×4, first 2 shown]
	v_fma_f64 v[104:105], v[38:39], s[4:5], -v[44:45]
	v_add_f64_e32 v[42:43], v[136:137], v[42:43]
	v_fma_f64 v[38:39], v[38:39], s[4:5], v[44:45]
	v_add_f64_e32 v[36:37], v[110:111], v[36:37]
	v_add_f64_e32 v[44:45], v[138:139], v[76:77]
	;; [unrolled: 1-line block ×5, first 2 shown]
	v_add_nc_u32_e32 v133, 0x400, v164
	v_add_nc_u32_e32 v132, 0x800, v164
	v_add_f64_e32 v[2:3], v[84:85], v[2:3]
	v_add_f64_e32 v[6:7], v[92:93], v[6:7]
	;; [unrolled: 1-line block ×17, first 2 shown]
	ds_load_b64 v[16:17], v163
	ds_load_2addr_b64 v[112:115], v164 offset0:85 offset1:102
	ds_load_2addr_b64 v[88:91], v164 offset0:153 offset1:170
	v_add_f64_e32 v[0:1], v[70:71], v[0:1]
	ds_load_2addr_b64 v[72:75], v164 offset0:17 offset1:34
	ds_load_2addr_b64 v[96:99], v164 offset0:187 offset1:204
	;; [unrolled: 1-line block ×10, first 2 shown]
	global_wb scope:SCOPE_SE
	s_wait_dscnt 0x0
	s_barrier_signal -1
	s_barrier_wait -1
	global_inv scope:SCOPE_SE
	ds_store_2addr_b64 v151, v[22:23], v[28:29] offset0:4 offset1:5
	ds_store_2addr_b64 v151, v[30:31], v[34:35] offset0:6 offset1:7
	;; [unrolled: 1-line block ×6, first 2 shown]
	ds_store_2addr_b64 v151, v[0:1], v[12:13] offset1:1
	ds_store_2addr_b64 v151, v[14:15], v[2:3] offset0:2 offset1:3
	ds_store_b64 v151, v[10:11] offset:128
	s_and_saveexec_b32 s33, s0
	s_cbranch_execz .LBB0_18
; %bb.17:
	s_clause 0x1
	scratch_load_b128 v[225:228], off, off offset:32 th:TH_LOAD_LU
	scratch_load_b128 v[229:232], off, off offset:48 th:TH_LOAD_LU
	v_add_f64_e32 v[0:1], v[66:67], v[18:19]
	s_clause 0x4
	scratch_load_b128 v[217:220], off, off th:TH_LOAD_LU
	scratch_load_b128 v[221:224], off, off offset:16 th:TH_LOAD_LU
	scratch_load_b128 v[28:31], off, off offset:160 th:TH_LOAD_LU
	scratch_load_b128 v[233:236], off, off offset:64 th:TH_LOAD_LU
	scratch_load_b128 v[237:240], off, off offset:80 th:TH_LOAD_LU
	s_mov_b32 s26, 0x5d8e7cdc
	s_mov_b32 s36, 0x2a9d6da3
	;; [unrolled: 1-line block ×30, first 2 shown]
	s_wait_alu 0xfffe
	s_mov_b32 s52, s28
	s_mov_b32 s48, s20
	v_add_f64_e32 v[0:1], v[62:63], v[0:1]
	s_mov_b32 s30, s44
	s_mov_b32 s42, s26
	;; [unrolled: 1-line block ×12, first 2 shown]
	s_delay_alu instid0(VALU_DEP_1) | instskip(NEXT) | instid1(VALU_DEP_1)
	v_add_f64_e32 v[0:1], v[58:59], v[0:1]
	v_add_f64_e32 v[0:1], v[54:55], v[0:1]
	s_delay_alu instid0(VALU_DEP_1)
	v_add_f64_e32 v[0:1], v[50:51], v[0:1]
	s_wait_loadcnt 0x6
	v_add_f64_e32 v[10:11], v[227:228], v[58:59]
	v_add_f64_e64 v[12:13], v[56:57], -v[225:226]
	s_clause 0x3
	scratch_load_b128 v[241:244], off, off offset:96 th:TH_LOAD_LU
	scratch_load_b128 v[56:59], off, off offset:144 th:TH_LOAD_LU
	;; [unrolled: 1-line block ×4, first 2 shown]
	s_wait_loadcnt 0x8
	v_add_f64_e64 v[4:5], v[64:65], -v[217:218]
	s_wait_loadcnt 0x6
	v_add_f64_e32 v[0:1], v[30:31], v[0:1]
	v_add_f64_e32 v[2:3], v[219:220], v[66:67]
	v_add_f64_e64 v[8:9], v[60:61], -v[221:222]
	s_wait_loadcnt 0x5
	v_add_f64_e64 v[24:25], v[48:49], -v[233:234]
	v_add_f64_e32 v[22:23], v[235:236], v[50:51]
	v_add_f64_e32 v[6:7], v[223:224], v[62:63]
	;; [unrolled: 1-line block ×3, first 2 shown]
	v_add_f64_e64 v[20:21], v[52:53], -v[229:230]
	s_wait_loadcnt 0x4
	v_add_f64_e32 v[26:27], v[239:240], v[30:31]
	v_add_f64_e64 v[28:29], v[28:29], -v[237:238]
	v_mul_f64_e32 v[66:67], s[44:45], v[12:13]
	v_mul_f64_e32 v[116:117], s[24:25], v[12:13]
	s_wait_alu 0xfffe
	v_mul_f64_e32 v[120:121], s[48:49], v[12:13]
	v_mul_f64_e32 v[38:39], s[26:27], v[4:5]
	;; [unrolled: 1-line block ×33, first 2 shown]
	v_fma_f64 v[203:204], v[10:11], s[10:11], -v[66:67]
	v_fma_f64 v[205:206], v[10:11], s[16:17], -v[116:117]
	v_fma_f64 v[116:117], v[10:11], s[16:17], v[116:117]
	v_fma_f64 v[153:154], v[2:3], s[0:1], -v[38:39]
	v_fma_f64 v[158:159], v[2:3], s[4:5], -v[40:41]
	v_fma_f64 v[40:41], v[2:3], s[4:5], v[40:41]
	v_fma_f64 v[160:161], v[2:3], s[12:13], -v[42:43]
	v_fma_f64 v[42:43], v[2:3], s[12:13], v[42:43]
	v_fma_f64 v[165:166], v[2:3], s[14:15], -v[44:45]
	v_fma_f64 v[167:168], v[2:3], s[16:17], -v[46:47]
	v_fma_f64 v[46:47], v[2:3], s[16:17], v[46:47]
	v_fma_f64 v[169:170], v[2:3], s[18:19], -v[48:49]
	v_fma_f64 v[171:172], v[2:3], s[22:23], -v[50:51]
	v_fma_f64 v[50:51], v[2:3], s[22:23], v[50:51]
	v_fma_f64 v[48:49], v[2:3], s[18:19], v[48:49]
	;; [unrolled: 1-line block ×3, first 2 shown]
	v_fma_f64 v[183:184], v[6:7], s[4:5], -v[52:53]
	v_fma_f64 v[52:53], v[6:7], s[4:5], v[52:53]
	v_fma_f64 v[185:186], v[6:7], s[12:13], -v[54:55]
	v_fma_f64 v[54:55], v[6:7], s[12:13], v[54:55]
	;; [unrolled: 2-line block ×8, first 2 shown]
	v_fma_f64 v[122:123], v[10:11], s[4:5], v[122:123]
	v_fma_f64 v[213:214], v[10:11], s[0:1], -v[124:125]
	v_fma_f64 v[124:125], v[10:11], s[0:1], v[124:125]
	v_fma_f64 v[215:216], v[10:11], s[12:13], -v[126:127]
	;; [unrolled: 2-line block ×3, first 2 shown]
	v_fma_f64 v[10:11], v[10:11], s[18:19], v[12:13]
	v_add_f64_e32 v[40:41], v[18:19], v[40:41]
	v_add_f64_e32 v[42:43], v[18:19], v[42:43]
	;; [unrolled: 1-line block ×8, first 2 shown]
	s_delay_alu instid0(VALU_DEP_4) | instskip(NEXT) | instid1(VALU_DEP_4)
	v_add_f64_e32 v[48:49], v[64:65], v[48:49]
	v_add_f64_e32 v[44:45], v[60:61], v[44:45]
	v_mul_f64_e32 v[60:61], s[38:39], v[28:29]
	s_delay_alu instid0(VALU_DEP_4) | instskip(SKIP_1) | instid1(VALU_DEP_4)
	v_add_f64_e32 v[46:47], v[124:125], v[46:47]
	v_fma_f64 v[124:125], v[22:23], s[14:15], -v[144:145]
	v_add_f64_e32 v[44:45], v[122:123], v[44:45]
	s_wait_loadcnt 0x2
	v_add_f64_e32 v[0:1], v[58:59], v[0:1]
	v_add_f64_e32 v[30:31], v[243:244], v[58:59]
	v_add_f64_e64 v[32:33], v[56:57], -v[241:242]
	v_mul_f64_e32 v[56:57], s[24:25], v[8:9]
	v_mul_f64_e32 v[58:59], s[38:39], v[8:9]
	;; [unrolled: 1-line block ×3, first 2 shown]
	s_wait_loadcnt 0x0
	v_add_f64_e64 v[36:37], v[173:174], -v[197:198]
	v_fma_f64 v[173:174], v[2:3], s[10:11], v[4:5]
	v_fma_f64 v[4:5], v[2:3], s[10:11], -v[4:5]
	v_fma_f64 v[2:3], v[2:3], s[0:1], v[38:39]
	v_add_f64_e32 v[34:35], v[199:200], v[175:176]
	v_mul_f64_e32 v[38:39], s[40:41], v[24:25]
	v_add_f64_e32 v[0:1], v[175:176], v[0:1]
	v_mul_f64_e32 v[175:176], s[44:45], v[24:25]
	v_mul_f64_e32 v[64:65], s[28:29], v[32:33]
	v_fma_f64 v[187:188], v[6:7], s[16:17], -v[56:57]
	v_fma_f64 v[56:57], v[6:7], s[16:17], v[56:57]
	v_fma_f64 v[189:190], v[6:7], s[22:23], -v[58:59]
	v_fma_f64 v[58:59], v[6:7], s[22:23], v[58:59]
	;; [unrolled: 2-line block ×3, first 2 shown]
	v_add_f64_e32 v[8:9], v[18:19], v[153:154]
	v_add_f64_e32 v[153:154], v[18:19], v[158:159]
	;; [unrolled: 1-line block ×10, first 2 shown]
	v_mul_f64_e32 v[18:19], s[24:25], v[24:25]
	v_mul_f64_e32 v[24:25], s[24:25], v[28:29]
	;; [unrolled: 1-line block ×4, first 2 shown]
	v_add_f64_e32 v[0:1], v[199:200], v[0:1]
	v_mul_f64_e32 v[199:200], s[26:27], v[28:29]
	v_add_f64_e32 v[42:43], v[58:59], v[42:43]
	v_add_f64_e32 v[6:7], v[6:7], v[50:51]
	;; [unrolled: 1-line block ×12, first 2 shown]
	v_fma_f64 v[160:161], v[14:15], s[12:13], -v[128:129]
	v_fma_f64 v[128:129], v[14:15], s[12:13], v[128:129]
	v_fma_f64 v[165:166], v[14:15], s[22:23], -v[130:131]
	v_fma_f64 v[130:131], v[14:15], s[22:23], v[130:131]
	;; [unrolled: 2-line block ×8, first 2 shown]
	v_add_f64_e32 v[20:21], v[116:117], v[40:41]
	v_mul_f64_e32 v[52:53], s[46:47], v[28:29]
	v_mul_f64_e32 v[56:57], s[36:37], v[28:29]
	v_add_f64_e32 v[0:1], v[243:244], v[0:1]
	v_mul_f64_e32 v[28:29], s[30:31], v[28:29]
	v_fma_f64 v[189:190], v[22:23], s[22:23], -v[177:178]
	v_fma_f64 v[177:178], v[22:23], s[22:23], v[177:178]
	v_fma_f64 v[191:192], v[22:23], s[12:13], -v[179:180]
	v_fma_f64 v[179:180], v[22:23], s[12:13], v[179:180]
	v_add_f64_e32 v[42:43], v[120:121], v[42:43]
	v_fma_f64 v[193:194], v[22:23], s[0:1], -v[181:182]
	v_add_f64_e32 v[6:7], v[10:11], v[6:7]
	v_add_f64_e32 v[8:9], v[203:204], v[8:9]
	;; [unrolled: 1-line block ×12, first 2 shown]
	v_fma_f64 v[126:127], v[22:23], s[14:15], v[144:145]
	v_fma_f64 v[144:145], v[22:23], s[18:19], -v[151:152]
	v_fma_f64 v[151:152], v[22:23], s[18:19], v[151:152]
	v_fma_f64 v[153:154], v[22:23], s[4:5], -v[38:39]
	;; [unrolled: 2-line block ×3, first 2 shown]
	v_fma_f64 v[175:176], v[22:23], s[10:11], v[175:176]
	v_fma_f64 v[181:182], v[22:23], s[0:1], v[181:182]
	v_fma_f64 v[195:196], v[22:23], s[16:17], -v[18:19]
	v_fma_f64 v[18:19], v[22:23], s[16:17], v[18:19]
	v_add_f64_e32 v[46:47], v[140:141], v[46:47]
	v_mul_f64_e32 v[50:51], s[30:31], v[32:33]
	v_mul_f64_e32 v[66:67], s[34:35], v[32:33]
	;; [unrolled: 1-line block ×4, first 2 shown]
	v_add_f64_e32 v[20:21], v[130:131], v[20:21]
	v_fma_f64 v[140:141], v[26:27], s[0:1], -v[199:200]
	v_mul_f64_e32 v[130:131], s[28:29], v[36:37]
	v_add_f64_e32 v[0:1], v[239:240], v[0:1]
	v_add_f64_e32 v[6:7], v[14:15], v[6:7]
	;; [unrolled: 1-line block ×15, first 2 shown]
	v_mul_f64_e32 v[48:49], s[40:41], v[32:33]
	v_mul_f64_e32 v[32:33], s[20:21], v[32:33]
	v_fma_f64 v[134:135], v[26:27], s[16:17], -v[24:25]
	v_fma_f64 v[24:25], v[26:27], s[16:17], v[24:25]
	v_fma_f64 v[136:137], v[26:27], s[14:15], -v[173:174]
	v_fma_f64 v[138:139], v[26:27], s[14:15], v[173:174]
	v_fma_f64 v[142:143], v[26:27], s[0:1], v[199:200]
	v_fma_f64 v[160:161], v[26:27], s[18:19], -v[201:202]
	v_fma_f64 v[165:166], v[26:27], s[18:19], v[201:202]
	v_fma_f64 v[167:168], v[26:27], s[12:13], -v[52:53]
	;; [unrolled: 2-line block ×5, first 2 shown]
	v_add_f64_e32 v[0:1], v[235:236], v[0:1]
	v_fma_f64 v[26:27], v[26:27], s[10:11], v[28:29]
	v_add_f64_e32 v[46:47], v[179:180], v[46:47]
	v_add_f64_e32 v[20:21], v[151:152], v[20:21]
	v_mul_f64_e32 v[116:117], s[38:39], v[36:37]
	v_mul_f64_e32 v[128:129], s[42:43], v[36:37]
	v_fma_f64 v[151:152], v[30:31], s[12:13], -v[66:67]
	v_fma_f64 v[66:67], v[30:31], s[12:13], v[66:67]
	v_add_f64_e32 v[6:7], v[18:19], v[6:7]
	v_add_f64_e32 v[8:9], v[124:125], v[8:9]
	;; [unrolled: 1-line block ×14, first 2 shown]
	v_mul_f64_e32 v[38:39], s[40:41], v[36:37]
	v_mul_f64_e32 v[44:45], s[24:25], v[36:37]
	v_fma_f64 v[126:127], v[30:31], s[18:19], -v[64:65]
	v_fma_f64 v[64:65], v[30:31], s[18:19], v[64:65]
	v_fma_f64 v[144:145], v[30:31], s[10:11], -v[50:51]
	v_fma_f64 v[50:51], v[30:31], s[10:11], v[50:51]
	v_fma_f64 v[153:154], v[30:31], s[16:17], -v[118:119]
	v_fma_f64 v[118:119], v[30:31], s[16:17], v[118:119]
	v_fma_f64 v[158:159], v[30:31], s[0:1], -v[120:121]
	v_fma_f64 v[120:121], v[30:31], s[0:1], v[120:121]
	v_fma_f64 v[175:176], v[30:31], s[22:23], -v[122:123]
	v_fma_f64 v[122:123], v[30:31], s[22:23], v[122:123]
	v_fma_f64 v[177:178], v[30:31], s[4:5], -v[48:49]
	v_fma_f64 v[48:49], v[30:31], s[4:5], v[48:49]
	v_fma_f64 v[179:180], v[30:31], s[14:15], -v[32:33]
	v_fma_f64 v[30:31], v[30:31], s[14:15], v[32:33]
	v_add_f64_e32 v[0:1], v[231:232], v[0:1]
	v_mul_f64_e32 v[62:63], s[30:31], v[36:37]
	v_mul_f64_e32 v[124:125], s[20:21], v[36:37]
	;; [unrolled: 1-line block ×3, first 2 shown]
	v_add_f64_e32 v[20:21], v[138:139], v[20:21]
	v_add_f64_e32 v[6:7], v[26:27], v[6:7]
	v_add_f64_e32 v[8:9], v[134:135], v[8:9]
	v_add_f64_e32 v[10:11], v[60:61], v[10:11]
	v_add_f64_e32 v[22:23], v[160:161], v[22:23]
	v_add_f64_e32 v[28:29], v[165:166], v[28:29]
	v_add_f64_e32 v[32:33], v[167:168], v[40:41]
	v_add_f64_e32 v[40:41], v[169:170], v[42:43]
	v_add_f64_e32 v[42:43], v[56:57], v[46:47]
	v_add_f64_e32 v[46:47], v[171:172], v[54:55]
	v_add_f64_e32 v[54:55], v[173:174], v[58:59]
	v_add_f64_e32 v[14:15], v[52:53], v[14:15]
	v_add_f64_e32 v[18:19], v[142:143], v[18:19]
	v_add_f64_e32 v[12:13], v[136:137], v[12:13]
	v_add_f64_e32 v[4:5], v[140:141], v[4:5]
	v_add_f64_e32 v[2:3], v[24:25], v[2:3]
	v_fma_f64 v[24:25], v[34:35], s[22:23], -v[116:117]
	v_fma_f64 v[26:27], v[34:35], s[22:23], v[116:117]
	v_fma_f64 v[52:53], v[34:35], s[0:1], -v[128:129]
	v_fma_f64 v[56:57], v[34:35], s[0:1], v[128:129]
	;; [unrolled: 2-line block ×3, first 2 shown]
	v_fma_f64 v[128:129], v[34:35], s[16:17], -v[44:45]
	v_fma_f64 v[58:59], v[34:35], s[18:19], -v[130:131]
	v_fma_f64 v[60:61], v[34:35], s[18:19], v[130:131]
	v_fma_f64 v[44:45], v[34:35], s[16:17], v[44:45]
	v_add_f64_e32 v[0:1], v[227:228], v[0:1]
	v_fma_f64 v[130:131], v[34:35], s[10:11], -v[62:63]
	v_fma_f64 v[62:63], v[34:35], s[10:11], v[62:63]
	v_fma_f64 v[134:135], v[34:35], s[14:15], -v[124:125]
	v_fma_f64 v[124:125], v[34:35], s[14:15], v[124:125]
	;; [unrolled: 2-line block ×3, first 2 shown]
	v_add_f64_e32 v[20:21], v[50:51], v[20:21]
	v_add_f64_e32 v[6:7], v[30:31], v[6:7]
	v_add_f64_e32 v[8:9], v[126:127], v[8:9]
	v_add_f64_e32 v[10:11], v[48:49], v[10:11]
	v_add_f64_e32 v[22:23], v[153:154], v[22:23]
	v_add_f64_e32 v[28:29], v[118:119], v[28:29]
	v_add_f64_e32 v[32:33], v[158:159], v[32:33]
	v_add_f64_e32 v[36:37], v[175:176], v[40:41]
	v_add_f64_e32 v[40:41], v[122:123], v[42:43]
	v_add_f64_e32 v[42:43], v[177:178], v[46:47]
	v_add_f64_e32 v[46:47], v[179:180], v[54:55]
	v_add_f64_e32 v[14:15], v[120:121], v[14:15]
	v_add_f64_e32 v[18:19], v[66:67], v[18:19]
	v_add_f64_e32 v[12:13], v[144:145], v[12:13]
	v_add_f64_e32 v[4:5], v[151:152], v[4:5]
	v_add_f64_e32 v[2:3], v[64:65], v[2:3]
	v_add_f64_e32 v[0:1], v[223:224], v[0:1]
	v_add_f64_e32 v[20:21], v[56:57], v[20:21]
	v_add_f64_e32 v[6:7], v[34:35], v[6:7]
	v_add_f64_e32 v[8:9], v[24:25], v[8:9]
	v_add_f64_e32 v[10:11], v[124:125], v[10:11]
	v_add_f64_e32 v[22:23], v[116:117], v[22:23]
	v_add_f64_e32 v[24:25], v[38:39], v[28:29]
	v_add_f64_e32 v[28:29], v[128:129], v[32:33]
	v_add_f64_e32 v[30:31], v[130:131], v[36:37]
	v_add_f64_e32 v[32:33], v[62:63], v[40:41]
	v_add_f64_e32 v[36:37], v[134:135], v[42:43]
	v_add_f64_e32 v[38:39], v[136:137], v[46:47]
	v_add_f64_e32 v[14:15], v[44:45], v[14:15]
	v_add_f64_e32 v[18:19], v[60:61], v[18:19]
	v_add_f64_e32 v[12:13], v[52:53], v[12:13]
	v_add_f64_e32 v[4:5], v[58:59], v[4:5]
	v_add_f64_e32 v[2:3], v[26:27], v[2:3]
	v_add3_u32 v26, 0, v147, v146
	v_add_f64_e32 v[0:1], v[219:220], v[0:1]
	ds_store_2addr_b64 v26, v[22:23], v[28:29] offset0:4 offset1:5
	ds_store_2addr_b64 v26, v[30:31], v[36:37] offset0:6 offset1:7
	;; [unrolled: 1-line block ×6, first 2 shown]
	ds_store_2addr_b64 v26, v[0:1], v[8:9] offset1:1
	ds_store_2addr_b64 v26, v[12:13], v[4:5] offset0:2 offset1:3
	ds_store_b64 v26, v[2:3] offset:128
.LBB0_18:
	s_or_b32 exec_lo, exec_lo, s33
	v_dual_mov_b32 v159, 0 :: v_dual_lshlrev_b32 v158, 2, v162
	global_wb scope:SCOPE_SE
	s_wait_dscnt 0x0
	s_barrier_signal -1
	s_barrier_wait -1
	global_inv scope:SCOPE_SE
	v_lshlrev_b64_e32 v[0:1], 4, v[158:159]
	ds_load_2addr_b64 v[4:7], v164 offset0:85 offset1:102
	ds_load_2addr_b64 v[18:21], v133 offset0:127 offset1:144
	v_add_nc_u32_e32 v151, 34, v162
	v_add_nc_u32_e32 v152, 51, v162
	v_add_nc_u32_e32 v134, 0x44, v162
	v_add_co_u32 v48, s0, s8, v0
	s_wait_alu 0xf1ff
	v_add_co_ci_u32_e64 v49, s0, s9, v1, s0
	s_mov_b32 s4, 0x134454ff
	s_mov_b32 s5, 0xbfee6f0e
	;; [unrolled: 1-line block ×3, first 2 shown]
	s_clause 0x1
	global_load_b128 v[0:3], v[48:49], off
	global_load_b128 v[10:13], v[48:49], off offset:16
	s_mov_b32 s1, 0xbfe2cf23
	s_mov_b32 s10, 0x372fe950
	;; [unrolled: 1-line block ×4, first 2 shown]
	s_wait_alu 0xfffe
	s_mov_b32 s14, s4
	s_mov_b32 s13, 0x3fe2cf23
	;; [unrolled: 1-line block ×3, first 2 shown]
	global_load_b128 v[22:25], v[48:49], off offset:48
	s_wait_loadcnt_dscnt 0x201
	v_mul_f64_e32 v[14:15], v[6:7], v[2:3]
	v_mul_f64_e32 v[8:9], v[4:5], v[2:3]
	s_delay_alu instid0(VALU_DEP_2) | instskip(SKIP_2) | instid1(VALU_DEP_4)
	v_fma_f64 v[58:59], v[114:115], v[0:1], v[14:15]
	v_mul_f64_e32 v[14:15], v[112:113], v[2:3]
	v_mul_f64_e32 v[2:3], v[114:115], v[2:3]
	v_fma_f64 v[8:9], v[112:113], v[0:1], v[8:9]
	s_delay_alu instid0(VALU_DEP_3) | instskip(NEXT) | instid1(VALU_DEP_3)
	v_fma_f64 v[64:65], v[4:5], v[0:1], -v[14:15]
	v_fma_f64 v[56:57], v[6:7], v[0:1], -v[2:3]
	global_load_b128 v[2:5], v[48:49], off offset:32
	s_wait_loadcnt_dscnt 0x0
	v_mul_f64_e32 v[6:7], v[20:21], v[4:5]
	v_mul_f64_e32 v[0:1], v[18:19], v[4:5]
	s_delay_alu instid0(VALU_DEP_2) | instskip(SKIP_2) | instid1(VALU_DEP_4)
	v_fma_f64 v[112:113], v[110:111], v[2:3], v[6:7]
	v_mul_f64_e32 v[6:7], v[108:109], v[4:5]
	v_mul_f64_e32 v[4:5], v[110:111], v[4:5]
	v_fma_f64 v[0:1], v[108:109], v[2:3], v[0:1]
	s_delay_alu instid0(VALU_DEP_3) | instskip(NEXT) | instid1(VALU_DEP_3)
	v_fma_f64 v[114:115], v[18:19], v[2:3], -v[6:7]
	v_fma_f64 v[108:109], v[20:21], v[2:3], -v[4:5]
	v_and_b32_e32 v2, 0xff, v151
	ds_load_2addr_b64 v[18:21], v164 offset0:119 offset1:136
	v_mul_lo_u16 v2, 0xf1, v2
	s_delay_alu instid0(VALU_DEP_1) | instskip(NEXT) | instid1(VALU_DEP_1)
	v_lshrrev_b16 v2, 12, v2
	v_mul_lo_u16 v2, v2, 17
	s_delay_alu instid0(VALU_DEP_1) | instskip(NEXT) | instid1(VALU_DEP_1)
	v_sub_nc_u16 v2, v151, v2
	v_and_b32_e32 v42, 0xff, v2
	s_delay_alu instid0(VALU_DEP_1)
	v_lshlrev_b32_e32 v14, 6, v42
	s_clause 0x1
	global_load_b128 v[2:5], v14, s[8:9]
	global_load_b128 v[26:29], v14, s[8:9] offset:16
	s_wait_loadcnt_dscnt 0x100
	v_mul_f64_e32 v[6:7], v[18:19], v[4:5]
	v_mul_f64_e32 v[4:5], v[104:105], v[4:5]
	s_delay_alu instid0(VALU_DEP_2) | instskip(NEXT) | instid1(VALU_DEP_2)
	v_fma_f64 v[52:53], v[104:105], v[2:3], v[6:7]
	v_fma_f64 v[50:51], v[18:19], v[2:3], -v[4:5]
	v_and_b32_e32 v2, 0xff, v152
	s_delay_alu instid0(VALU_DEP_1) | instskip(NEXT) | instid1(VALU_DEP_1)
	v_mul_lo_u16 v2, 0xf1, v2
	v_lshrrev_b16 v2, 12, v2
	s_delay_alu instid0(VALU_DEP_1) | instskip(NEXT) | instid1(VALU_DEP_1)
	v_mul_lo_u16 v2, v2, 17
	v_sub_nc_u16 v2, v152, v2
	s_delay_alu instid0(VALU_DEP_1) | instskip(NEXT) | instid1(VALU_DEP_1)
	v_and_b32_e32 v43, 0xff, v2
	v_lshlrev_b32_e32 v15, 6, v43
	s_clause 0x1
	global_load_b128 v[2:5], v15, s[8:9]
	global_load_b128 v[30:33], v15, s[8:9] offset:16
	s_wait_loadcnt 0x1
	v_mul_f64_e32 v[6:7], v[20:21], v[4:5]
	v_mul_f64_e32 v[4:5], v[106:107], v[4:5]
	s_delay_alu instid0(VALU_DEP_2) | instskip(NEXT) | instid1(VALU_DEP_2)
	v_fma_f64 v[110:111], v[106:107], v[2:3], v[6:7]
	v_fma_f64 v[104:105], v[20:21], v[2:3], -v[4:5]
	s_clause 0x1
	global_load_b128 v[2:5], v14, s[8:9] offset:32
	global_load_b128 v[18:21], v14, s[8:9] offset:48
	ds_load_2addr_b64 v[34:37], v132 offset0:33 offset1:50
	s_wait_loadcnt_dscnt 0x100
	v_mul_f64_e32 v[6:7], v[34:35], v[4:5]
	v_mul_f64_e32 v[4:5], v[100:101], v[4:5]
	s_delay_alu instid0(VALU_DEP_2) | instskip(NEXT) | instid1(VALU_DEP_2)
	v_fma_f64 v[60:61], v[100:101], v[2:3], v[6:7]
	v_fma_f64 v[54:55], v[34:35], v[2:3], -v[4:5]
	s_clause 0x1
	global_load_b128 v[2:5], v15, s[8:9] offset:32
	global_load_b128 v[38:41], v15, s[8:9] offset:48
	s_wait_loadcnt 0x1
	v_mul_f64_e32 v[6:7], v[36:37], v[4:5]
	v_mul_f64_e32 v[4:5], v[102:103], v[4:5]
	s_delay_alu instid0(VALU_DEP_2) | instskip(NEXT) | instid1(VALU_DEP_2)
	v_fma_f64 v[106:107], v[102:103], v[2:3], v[6:7]
	v_fma_f64 v[100:101], v[36:37], v[2:3], -v[4:5]
	ds_load_2addr_b64 v[2:5], v164 offset0:187 offset1:204
	s_wait_dscnt 0x0
	v_mul_f64_e32 v[6:7], v[4:5], v[28:29]
	s_delay_alu instid0(VALU_DEP_1) | instskip(SKIP_1) | instid1(VALU_DEP_1)
	v_fma_f64 v[66:67], v[98:99], v[26:27], v[6:7]
	v_mul_f64_e32 v[6:7], v[98:99], v[28:29]
	v_fma_f64 v[62:63], v[4:5], v[26:27], -v[6:7]
	v_mul_f64_e32 v[4:5], v[2:3], v[12:13]
	s_delay_alu instid0(VALU_DEP_1) | instskip(SKIP_1) | instid1(VALU_DEP_1)
	v_fma_f64 v[120:121], v[96:97], v[10:11], v[4:5]
	v_mul_f64_e32 v[4:5], v[96:97], v[12:13]
	v_fma_f64 v[118:119], v[2:3], v[10:11], -v[4:5]
	ds_load_2addr_b64 v[2:5], v164 offset0:153 offset1:170
	s_wait_dscnt 0x0
	v_mul_f64_e32 v[6:7], v[4:5], v[12:13]
	s_delay_alu instid0(VALU_DEP_1) | instskip(SKIP_1) | instid1(VALU_DEP_1)
	v_fma_f64 v[14:15], v[90:91], v[10:11], v[6:7]
	v_mul_f64_e32 v[6:7], v[90:91], v[12:13]
	v_fma_f64 v[122:123], v[4:5], v[10:11], -v[6:7]
	v_and_b32_e32 v4, 0xff, v134
	s_delay_alu instid0(VALU_DEP_1) | instskip(NEXT) | instid1(VALU_DEP_1)
	v_mul_lo_u16 v4, 0xf1, v4
	v_lshrrev_b16 v4, 12, v4
	s_delay_alu instid0(VALU_DEP_1) | instskip(NEXT) | instid1(VALU_DEP_1)
	v_mul_lo_u16 v4, v4, 17
	v_sub_nc_u16 v4, v134, v4
	s_delay_alu instid0(VALU_DEP_1) | instskip(NEXT) | instid1(VALU_DEP_1)
	v_and_b32_e32 v34, 0xff, v4
	v_lshlrev_b32_e32 v28, 6, v34
	s_clause 0x1
	global_load_b128 v[4:7], v28, s[8:9]
	global_load_b128 v[10:13], v28, s[8:9] offset:16
	s_wait_loadcnt 0x1
	v_mul_f64_e32 v[26:27], v[2:3], v[6:7]
	v_mul_f64_e32 v[6:7], v[88:89], v[6:7]
	s_delay_alu instid0(VALU_DEP_2) | instskip(NEXT) | instid1(VALU_DEP_2)
	v_fma_f64 v[96:97], v[88:89], v[4:5], v[26:27]
	v_fma_f64 v[90:91], v[2:3], v[4:5], -v[6:7]
	ds_load_2addr_b64 v[2:5], v164 offset0:221 offset1:238
	s_wait_dscnt 0x0
	v_mul_f64_e32 v[6:7], v[2:3], v[32:33]
	s_delay_alu instid0(VALU_DEP_1) | instskip(SKIP_1) | instid1(VALU_DEP_1)
	v_fma_f64 v[116:117], v[92:93], v[30:31], v[6:7]
	v_mul_f64_e32 v[6:7], v[92:93], v[32:33]
	v_fma_f64 v[102:103], v[2:3], v[30:31], -v[6:7]
	s_wait_loadcnt 0x0
	v_mul_f64_e32 v[2:3], v[4:5], v[12:13]
	s_delay_alu instid0(VALU_DEP_1) | instskip(SKIP_1) | instid1(VALU_DEP_2)
	v_fma_f64 v[98:99], v[94:95], v[10:11], v[2:3]
	v_mul_f64_e32 v[2:3], v[94:95], v[12:13]
	v_add_f64_e64 v[30:31], v[96:97], -v[98:99]
	s_delay_alu instid0(VALU_DEP_2) | instskip(SKIP_3) | instid1(VALU_DEP_1)
	v_fma_f64 v[92:93], v[4:5], v[10:11], -v[2:3]
	ds_load_2addr_b64 v[2:5], v132 offset0:101 offset1:118
	s_wait_dscnt 0x0
	v_mul_f64_e32 v[6:7], v[4:5], v[20:21]
	v_fma_f64 v[88:89], v[86:87], v[18:19], v[6:7]
	v_mul_f64_e32 v[6:7], v[86:87], v[20:21]
	s_delay_alu instid0(VALU_DEP_1) | instskip(SKIP_2) | instid1(VALU_DEP_2)
	v_fma_f64 v[86:87], v[4:5], v[18:19], -v[6:7]
	v_mul_f64_e32 v[4:5], v[2:3], v[24:25]
	v_mul_f64_e32 v[6:7], v[82:83], v[24:25]
	v_fma_f64 v[128:129], v[84:85], v[22:23], v[4:5]
	v_mul_f64_e32 v[4:5], v[84:85], v[24:25]
	s_delay_alu instid0(VALU_DEP_1)
	v_fma_f64 v[124:125], v[2:3], v[22:23], -v[4:5]
	ds_load_2addr_b64 v[2:5], v132 offset0:67 offset1:84
	s_wait_dscnt 0x0
	v_fma_f64 v[130:131], v[4:5], v[22:23], -v[6:7]
	v_mul_f64_e32 v[4:5], v[4:5], v[24:25]
	v_add_f64_e64 v[24:25], v[102:103], -v[100:101]
	s_delay_alu instid0(VALU_DEP_2) | instskip(SKIP_4) | instid1(VALU_DEP_1)
	v_fma_f64 v[18:19], v[82:83], v[22:23], v[4:5]
	s_clause 0x1
	global_load_b128 v[4:7], v28, s[8:9] offset:32
	global_load_b128 v[10:13], v28, s[8:9] offset:48
	v_lshlrev_b32_e32 v28, 3, v43
	v_add3_u32 v153, 0, v28, v146
	s_delay_alu instid0(VALU_DEP_1) | instskip(SKIP_4) | instid1(VALU_DEP_2)
	v_add_nc_u32_e32 v154, 0x400, v153
	v_add_nc_u32_e32 v155, 0x800, v153
	s_wait_loadcnt 0x1
	v_mul_f64_e32 v[20:21], v[2:3], v[6:7]
	v_mul_f64_e32 v[6:7], v[80:81], v[6:7]
	v_fma_f64 v[82:83], v[80:81], v[4:5], v[20:21]
	s_delay_alu instid0(VALU_DEP_2) | instskip(SKIP_3) | instid1(VALU_DEP_1)
	v_fma_f64 v[80:81], v[2:3], v[4:5], -v[6:7]
	ds_load_2addr_b64 v[2:5], v132 offset0:135 offset1:152
	s_wait_dscnt 0x0
	v_mul_f64_e32 v[6:7], v[2:3], v[40:41]
	v_fma_f64 v[126:127], v[76:77], v[38:39], v[6:7]
	v_mul_f64_e32 v[6:7], v[76:77], v[40:41]
	s_delay_alu instid0(VALU_DEP_1) | instskip(SKIP_3) | instid1(VALU_DEP_2)
	v_fma_f64 v[94:95], v[2:3], v[38:39], -v[6:7]
	s_wait_loadcnt 0x0
	v_mul_f64_e32 v[2:3], v[4:5], v[12:13]
	v_add_f64_e32 v[6:7], v[14:15], v[0:1]
	v_fma_f64 v[84:85], v[78:79], v[10:11], v[2:3]
	v_mul_f64_e32 v[2:3], v[78:79], v[12:13]
	s_delay_alu instid0(VALU_DEP_3)
	v_fma_f64 v[6:7], v[6:7], -0.5, v[16:17]
	v_add_f64_e64 v[12:13], v[122:123], -v[114:115]
	ds_load_b64 v[78:79], v163
	ds_load_2addr_b64 v[135:138], v164 offset0:17 offset1:34
	ds_load_2addr_b64 v[139:142], v164 offset0:51 offset1:68
	global_wb scope:SCOPE_SE
	s_wait_dscnt 0x0
	s_barrier_signal -1
	s_barrier_wait -1
	global_inv scope:SCOPE_SE
	v_add_f64_e64 v[32:33], v[84:85], -v[82:83]
	v_fma_f64 v[76:77], v[4:5], v[10:11], -v[2:3]
	v_add_f64_e64 v[2:3], v[8:9], -v[14:15]
	v_add_f64_e64 v[4:5], v[18:19], -v[0:1]
	;; [unrolled: 1-line block ×3, first 2 shown]
	v_add_f64_e32 v[30:31], v[30:31], v[32:33]
	v_lshlrev_b32_e32 v32, 3, v34
	v_add_f64_e64 v[34:35], v[92:93], -v[80:81]
	v_add_f64_e32 v[2:3], v[2:3], v[4:5]
	v_add_f64_e32 v[4:5], v[16:17], v[8:9]
	v_fma_f64 v[20:21], v[10:11], s[4:5], v[6:7]
	v_add3_u32 v158, 0, v32, v146
	v_add_f64_e64 v[32:33], v[90:91], -v[76:77]
	s_delay_alu instid0(VALU_DEP_2) | instskip(SKIP_2) | instid1(VALU_DEP_2)
	v_add_nc_u32_e32 v165, 0x800, v158
	v_add_f64_e32 v[4:5], v[4:5], v[14:15]
	v_fma_f64 v[20:21], v[12:13], s[0:1], v[20:21]
	v_add_f64_e32 v[4:5], v[4:5], v[0:1]
	s_delay_alu instid0(VALU_DEP_2) | instskip(NEXT) | instid1(VALU_DEP_2)
	v_fma_f64 v[20:21], v[2:3], s[10:11], v[20:21]
	v_add_f64_e32 v[4:5], v[4:5], v[18:19]
	ds_store_2addr_b64 v164, v[4:5], v[20:21] offset1:17
	v_add_f64_e32 v[4:5], v[8:9], v[18:19]
	v_add_f64_e64 v[20:21], v[0:1], -v[18:19]
	s_delay_alu instid0(VALU_DEP_2) | instskip(SKIP_1) | instid1(VALU_DEP_1)
	v_fma_f64 v[4:5], v[4:5], -0.5, v[16:17]
	v_add_f64_e64 v[16:17], v[14:15], -v[8:9]
	v_add_f64_e32 v[16:17], v[16:17], v[20:21]
	s_wait_alu 0xfffe
	s_delay_alu instid0(VALU_DEP_3) | instskip(SKIP_1) | instid1(VALU_DEP_2)
	v_fma_f64 v[20:21], v[12:13], s[14:15], v[4:5]
	v_fma_f64 v[4:5], v[12:13], s[4:5], v[4:5]
	;; [unrolled: 1-line block ×3, first 2 shown]
	s_delay_alu instid0(VALU_DEP_2) | instskip(NEXT) | instid1(VALU_DEP_2)
	v_fma_f64 v[4:5], v[10:11], s[12:13], v[4:5]
	v_fma_f64 v[20:21], v[16:17], s[10:11], v[20:21]
	s_delay_alu instid0(VALU_DEP_2)
	v_fma_f64 v[4:5], v[16:17], s[10:11], v[4:5]
	v_add_f64_e64 v[16:17], v[118:119], -v[108:109]
	ds_store_2addr_b64 v164, v[20:21], v[4:5] offset0:34 offset1:51
	v_fma_f64 v[4:5], v[10:11], s[14:15], v[6:7]
	v_add_f64_e64 v[6:7], v[112:113], -v[128:129]
	v_add_f64_e32 v[10:11], v[58:59], v[128:129]
	s_delay_alu instid0(VALU_DEP_3) | instskip(SKIP_1) | instid1(VALU_DEP_3)
	v_fma_f64 v[4:5], v[12:13], s[12:13], v[4:5]
	v_add_f64_e64 v[12:13], v[56:57], -v[124:125]
	v_fma_f64 v[10:11], v[10:11], -0.5, v[72:73]
	s_delay_alu instid0(VALU_DEP_3) | instskip(SKIP_1) | instid1(VALU_DEP_3)
	v_fma_f64 v[2:3], v[2:3], s[10:11], v[4:5]
	v_add_f64_e32 v[4:5], v[72:73], v[58:59]
	v_fma_f64 v[22:23], v[16:17], s[14:15], v[10:11]
	v_fma_f64 v[10:11], v[16:17], s[4:5], v[10:11]
	s_delay_alu instid0(VALU_DEP_3) | instskip(NEXT) | instid1(VALU_DEP_3)
	v_add_f64_e32 v[4:5], v[4:5], v[120:121]
	v_fma_f64 v[22:23], v[12:13], s[0:1], v[22:23]
	s_delay_alu instid0(VALU_DEP_3) | instskip(NEXT) | instid1(VALU_DEP_3)
	v_fma_f64 v[10:11], v[12:13], s[12:13], v[10:11]
	v_add_f64_e32 v[4:5], v[4:5], v[112:113]
	s_delay_alu instid0(VALU_DEP_1) | instskip(SKIP_3) | instid1(VALU_DEP_1)
	v_add_f64_e32 v[4:5], v[4:5], v[128:129]
	ds_store_2addr_b64 v164, v[2:3], v[4:5] offset0:68 offset1:85
	v_add_f64_e64 v[2:3], v[58:59], -v[120:121]
	v_add_f64_e64 v[4:5], v[128:129], -v[112:113]
	v_add_f64_e32 v[2:3], v[2:3], v[4:5]
	v_add_f64_e64 v[4:5], v[120:121], -v[58:59]
	v_add_f64_e64 v[58:59], v[58:59], -v[128:129]
	s_delay_alu instid0(VALU_DEP_2) | instskip(SKIP_1) | instid1(VALU_DEP_2)
	v_add_f64_e32 v[4:5], v[4:5], v[6:7]
	v_add_f64_e32 v[6:7], v[120:121], v[112:113]
	v_fma_f64 v[22:23], v[4:5], s[10:11], v[22:23]
	s_delay_alu instid0(VALU_DEP_2) | instskip(SKIP_2) | instid1(VALU_DEP_3)
	v_fma_f64 v[6:7], v[6:7], -0.5, v[72:73]
	v_fma_f64 v[4:5], v[4:5], s[10:11], v[10:11]
	v_add_f64_e64 v[10:11], v[52:53], -v[66:67]
	v_fma_f64 v[20:21], v[12:13], s[4:5], v[6:7]
	v_fma_f64 v[6:7], v[12:13], s[14:15], v[6:7]
	v_add_f64_e64 v[12:13], v[88:89], -v[60:61]
	s_delay_alu instid0(VALU_DEP_3) | instskip(NEXT) | instid1(VALU_DEP_3)
	v_fma_f64 v[20:21], v[16:17], s[0:1], v[20:21]
	v_fma_f64 v[6:7], v[16:17], s[12:13], v[6:7]
	s_delay_alu instid0(VALU_DEP_3)
	v_add_f64_e32 v[10:11], v[10:11], v[12:13]
	v_add_f64_e64 v[12:13], v[50:51], -v[86:87]
	v_add_f64_e64 v[16:17], v[62:63], -v[54:55]
	v_fma_f64 v[20:21], v[2:3], s[10:11], v[20:21]
	v_fma_f64 v[2:3], v[2:3], s[10:11], v[6:7]
	v_add_f64_e32 v[6:7], v[74:75], v[52:53]
	ds_store_2addr_b64 v164, v[20:21], v[22:23] offset0:102 offset1:119
	ds_store_2addr_b64 v164, v[4:5], v[2:3] offset0:136 offset1:153
	v_add_f64_e32 v[2:3], v[66:67], v[60:61]
	v_add_f64_e32 v[6:7], v[6:7], v[66:67]
	;; [unrolled: 1-line block ×3, first 2 shown]
	v_lshlrev_b32_e32 v22, 3, v42
	s_delay_alu instid0(VALU_DEP_1) | instskip(SKIP_4) | instid1(VALU_DEP_3)
	v_add3_u32 v147, 0, v22, v146
	v_add_f64_e64 v[22:23], v[104:105], -v[94:95]
	v_fma_f64 v[2:3], v[2:3], -0.5, v[74:75]
	v_add_f64_e32 v[6:7], v[6:7], v[60:61]
	v_fma_f64 v[4:5], v[4:5], -0.5, v[74:75]
	v_fma_f64 v[20:21], v[12:13], s[4:5], v[2:3]
	s_delay_alu instid0(VALU_DEP_3) | instskip(SKIP_1) | instid1(VALU_DEP_3)
	v_add_f64_e32 v[6:7], v[6:7], v[88:89]
	v_fma_f64 v[2:3], v[12:13], s[14:15], v[2:3]
	v_fma_f64 v[20:21], v[16:17], s[0:1], v[20:21]
	s_delay_alu instid0(VALU_DEP_2) | instskip(NEXT) | instid1(VALU_DEP_2)
	v_fma_f64 v[2:3], v[16:17], s[12:13], v[2:3]
	v_fma_f64 v[20:21], v[10:11], s[10:11], v[20:21]
	ds_store_2addr_b64 v147, v[6:7], v[20:21] offset0:170 offset1:187
	v_add_f64_e64 v[6:7], v[66:67], -v[52:53]
	v_add_f64_e64 v[20:21], v[60:61], -v[88:89]
	;; [unrolled: 1-line block ×5, first 2 shown]
	s_delay_alu instid0(VALU_DEP_4) | instskip(SKIP_2) | instid1(VALU_DEP_2)
	v_add_f64_e32 v[6:7], v[6:7], v[20:21]
	v_fma_f64 v[20:21], v[16:17], s[14:15], v[4:5]
	v_fma_f64 v[4:5], v[16:17], s[4:5], v[4:5]
	v_fma_f64 v[20:21], v[12:13], s[0:1], v[20:21]
	s_delay_alu instid0(VALU_DEP_2) | instskip(NEXT) | instid1(VALU_DEP_2)
	v_fma_f64 v[4:5], v[12:13], s[12:13], v[4:5]
	v_fma_f64 v[20:21], v[6:7], s[10:11], v[20:21]
	s_delay_alu instid0(VALU_DEP_2) | instskip(SKIP_4) | instid1(VALU_DEP_2)
	v_fma_f64 v[4:5], v[6:7], s[10:11], v[4:5]
	v_add_f64_e64 v[6:7], v[126:127], -v[106:107]
	ds_store_2addr_b64 v147, v[20:21], v[4:5] offset0:204 offset1:221
	v_add_f64_e64 v[4:5], v[110:111], -v[116:117]
	v_add_f64_e32 v[20:21], v[116:117], v[106:107]
	v_add_f64_e32 v[4:5], v[4:5], v[6:7]
	;; [unrolled: 1-line block ×3, first 2 shown]
	s_delay_alu instid0(VALU_DEP_3) | instskip(NEXT) | instid1(VALU_DEP_2)
	v_fma_f64 v[20:21], v[20:21], -0.5, v[68:69]
	v_add_f64_e32 v[6:7], v[6:7], v[116:117]
	s_delay_alu instid0(VALU_DEP_2) | instskip(SKIP_1) | instid1(VALU_DEP_3)
	v_fma_f64 v[26:27], v[22:23], s[4:5], v[20:21]
	v_fma_f64 v[12:13], v[22:23], s[14:15], v[20:21]
	v_add_f64_e32 v[6:7], v[6:7], v[106:107]
	s_delay_alu instid0(VALU_DEP_3) | instskip(NEXT) | instid1(VALU_DEP_3)
	v_fma_f64 v[26:27], v[24:25], s[0:1], v[26:27]
	v_fma_f64 v[12:13], v[24:25], s[12:13], v[12:13]
	s_delay_alu instid0(VALU_DEP_3) | instskip(NEXT) | instid1(VALU_DEP_3)
	v_add_f64_e32 v[6:7], v[6:7], v[126:127]
	v_fma_f64 v[26:27], v[4:5], s[10:11], v[26:27]
	ds_store_2addr_b64 v154, v[6:7], v[26:27] offset0:127 offset1:144
	v_add_f64_e64 v[6:7], v[116:117], -v[110:111]
	v_add_f64_e64 v[26:27], v[106:107], -v[126:127]
	s_delay_alu instid0(VALU_DEP_1) | instskip(SKIP_1) | instid1(VALU_DEP_1)
	v_add_f64_e32 v[6:7], v[6:7], v[26:27]
	v_add_f64_e32 v[26:27], v[110:111], v[126:127]
	v_fma_f64 v[26:27], v[26:27], -0.5, v[68:69]
	v_add_f64_e64 v[68:69], v[8:9], -v[18:19]
	v_add_f64_e64 v[8:9], v[130:131], -v[114:115]
	s_delay_alu instid0(VALU_DEP_3) | instskip(SKIP_1) | instid1(VALU_DEP_2)
	v_fma_f64 v[28:29], v[24:25], s[14:15], v[26:27]
	v_fma_f64 v[26:27], v[24:25], s[4:5], v[26:27]
	;; [unrolled: 1-line block ×3, first 2 shown]
	s_delay_alu instid0(VALU_DEP_2) | instskip(NEXT) | instid1(VALU_DEP_2)
	v_fma_f64 v[26:27], v[22:23], s[12:13], v[26:27]
	v_fma_f64 v[28:29], v[6:7], s[10:11], v[28:29]
	s_delay_alu instid0(VALU_DEP_2)
	v_fma_f64 v[6:7], v[6:7], s[10:11], v[26:27]
	v_add_f64_e32 v[26:27], v[96:97], v[84:85]
	ds_store_2addr_b64 v155, v[28:29], v[6:7] offset0:33 offset1:50
	v_add_f64_e32 v[6:7], v[98:99], v[82:83]
	v_add_f64_e32 v[28:29], v[70:71], v[96:97]
	v_fma_f64 v[26:27], v[26:27], -0.5, v[70:71]
	s_delay_alu instid0(VALU_DEP_3) | instskip(NEXT) | instid1(VALU_DEP_3)
	v_fma_f64 v[6:7], v[6:7], -0.5, v[70:71]
	v_add_f64_e32 v[28:29], v[28:29], v[98:99]
	v_add_f64_e64 v[70:71], v[14:15], -v[0:1]
	v_fma_f64 v[0:1], v[10:11], s[10:11], v[2:3]
	v_fma_f64 v[2:3], v[4:5], s[10:11], v[12:13]
	;; [unrolled: 1-line block ×3, first 2 shown]
	v_add_f64_e32 v[28:29], v[28:29], v[82:83]
	v_fma_f64 v[6:7], v[32:33], s[14:15], v[6:7]
	s_delay_alu instid0(VALU_DEP_3) | instskip(NEXT) | instid1(VALU_DEP_3)
	v_fma_f64 v[36:37], v[34:35], s[0:1], v[36:37]
	v_add_f64_e32 v[28:29], v[28:29], v[84:85]
	s_delay_alu instid0(VALU_DEP_3) | instskip(NEXT) | instid1(VALU_DEP_3)
	v_fma_f64 v[6:7], v[34:35], s[12:13], v[6:7]
	v_fma_f64 v[36:37], v[30:31], s[10:11], v[36:37]
	s_delay_alu instid0(VALU_DEP_2)
	v_fma_f64 v[4:5], v[30:31], s[10:11], v[6:7]
	v_add_f64_e64 v[6:7], v[64:65], -v[122:123]
	ds_store_2addr_b64 v165, v[28:29], v[36:37] offset0:84 offset1:101
	v_add_f64_e64 v[28:29], v[98:99], -v[96:97]
	v_add_f64_e64 v[36:37], v[82:83], -v[84:85]
	v_add_f64_e32 v[72:73], v[6:7], v[8:9]
	v_add_f64_e64 v[82:83], v[98:99], -v[82:83]
	s_delay_alu instid0(VALU_DEP_3) | instskip(SKIP_2) | instid1(VALU_DEP_2)
	v_add_f64_e32 v[28:29], v[28:29], v[36:37]
	v_fma_f64 v[36:37], v[34:35], s[14:15], v[26:27]
	v_fma_f64 v[26:27], v[34:35], s[4:5], v[26:27]
	;; [unrolled: 1-line block ×3, first 2 shown]
	s_delay_alu instid0(VALU_DEP_2) | instskip(NEXT) | instid1(VALU_DEP_2)
	v_fma_f64 v[26:27], v[32:33], s[12:13], v[26:27]
	v_fma_f64 v[36:37], v[28:29], s[10:11], v[36:37]
	s_delay_alu instid0(VALU_DEP_2)
	v_fma_f64 v[26:27], v[28:29], s[10:11], v[26:27]
	ds_store_2addr_b64 v165, v[36:37], v[26:27] offset0:118 offset1:135
	ds_store_b64 v147, v[0:1] offset:1904
	ds_store_b64 v153, v[2:3] offset:2584
	;; [unrolled: 1-line block ×3, first 2 shown]
	v_add_f64_e32 v[0:1], v[78:79], v[64:65]
	v_add_f64_e32 v[2:3], v[122:123], v[114:115]
	global_wb scope:SCOPE_SE
	s_wait_dscnt 0x0
	s_barrier_signal -1
	s_barrier_wait -1
	global_inv scope:SCOPE_SE
	v_add_f64_e32 v[0:1], v[0:1], v[122:123]
	v_add_f64_e64 v[122:123], v[122:123], -v[64:65]
	v_add_f64_e32 v[64:65], v[64:65], v[130:131]
	v_fma_f64 v[74:75], v[2:3], -0.5, v[78:79]
	s_delay_alu instid0(VALU_DEP_4) | instskip(SKIP_1) | instid1(VALU_DEP_4)
	v_add_f64_e32 v[0:1], v[0:1], v[114:115]
	v_add_f64_e64 v[114:115], v[114:115], -v[130:131]
	v_fma_f64 v[64:65], v[64:65], -0.5, v[78:79]
	s_delay_alu instid0(VALU_DEP_4) | instskip(NEXT) | instid1(VALU_DEP_4)
	v_fma_f64 v[2:3], v[68:69], s[14:15], v[74:75]
	v_add_f64_e32 v[143:144], v[0:1], v[130:131]
	s_delay_alu instid0(VALU_DEP_4) | instskip(NEXT) | instid1(VALU_DEP_4)
	v_add_f64_e32 v[78:79], v[122:123], v[114:115]
	v_fma_f64 v[114:115], v[70:71], s[4:5], v[64:65]
	v_fma_f64 v[64:65], v[70:71], s[14:15], v[64:65]
	;; [unrolled: 1-line block ×3, first 2 shown]
	s_delay_alu instid0(VALU_DEP_3) | instskip(NEXT) | instid1(VALU_DEP_3)
	v_fma_f64 v[114:115], v[68:69], s[12:13], v[114:115]
	v_fma_f64 v[64:65], v[68:69], s[0:1], v[64:65]
	s_delay_alu instid0(VALU_DEP_3)
	v_fma_f64 v[145:146], v[72:73], s[10:11], v[2:3]
	ds_load_b64 v[160:161], v163
	ds_load_2addr_b64 v[8:11], v133 offset0:127 offset1:144
	ds_load_2addr_b64 v[44:47], v132 offset0:67 offset1:84
	;; [unrolled: 1-line block ×12, first 2 shown]
	global_wb scope:SCOPE_SE
	s_wait_dscnt 0x0
	s_barrier_signal -1
	s_barrier_wait -1
	global_inv scope:SCOPE_SE
	v_fma_f64 v[114:115], v[78:79], s[10:11], v[114:115]
	v_fma_f64 v[64:65], v[78:79], s[10:11], v[64:65]
	v_add_f64_e64 v[78:79], v[108:109], -v[124:125]
	ds_store_2addr_b64 v164, v[143:144], v[145:146] offset1:17
	ds_store_2addr_b64 v164, v[114:115], v[64:65] offset0:34 offset1:51
	v_fma_f64 v[64:65], v[68:69], s[4:5], v[74:75]
	v_add_f64_e32 v[68:69], v[135:136], v[56:57]
	v_add_f64_e64 v[74:75], v[124:125], -v[108:109]
	s_delay_alu instid0(VALU_DEP_3) | instskip(NEXT) | instid1(VALU_DEP_3)
	v_fma_f64 v[64:65], v[70:71], s[0:1], v[64:65]
	v_add_f64_e32 v[68:69], v[68:69], v[118:119]
	v_add_f64_e64 v[70:71], v[56:57], -v[118:119]
	s_delay_alu instid0(VALU_DEP_3) | instskip(NEXT) | instid1(VALU_DEP_3)
	v_fma_f64 v[64:65], v[72:73], s[10:11], v[64:65]
	v_add_f64_e32 v[68:69], v[68:69], v[108:109]
	v_add_f64_e64 v[72:73], v[118:119], -v[56:57]
	v_add_f64_e32 v[56:57], v[56:57], v[124:125]
	v_add_f64_e32 v[70:71], v[70:71], v[74:75]
	s_delay_alu instid0(VALU_DEP_4) | instskip(NEXT) | instid1(VALU_DEP_4)
	v_add_f64_e32 v[68:69], v[68:69], v[124:125]
	v_add_f64_e32 v[72:73], v[72:73], v[78:79]
	s_delay_alu instid0(VALU_DEP_4) | instskip(SKIP_3) | instid1(VALU_DEP_2)
	v_fma_f64 v[56:57], v[56:57], -0.5, v[135:136]
	ds_store_2addr_b64 v164, v[64:65], v[68:69] offset0:68 offset1:85
	v_add_f64_e32 v[68:69], v[118:119], v[108:109]
	v_add_f64_e64 v[64:65], v[120:121], -v[112:113]
	v_fma_f64 v[68:69], v[68:69], -0.5, v[135:136]
	s_delay_alu instid0(VALU_DEP_2) | instskip(SKIP_1) | instid1(VALU_DEP_3)
	v_fma_f64 v[78:79], v[64:65], s[4:5], v[56:57]
	v_fma_f64 v[56:57], v[64:65], s[14:15], v[56:57]
	;; [unrolled: 1-line block ×4, first 2 shown]
	s_delay_alu instid0(VALU_DEP_3) | instskip(SKIP_1) | instid1(VALU_DEP_4)
	v_fma_f64 v[56:57], v[58:59], s[0:1], v[56:57]
	v_fma_f64 v[78:79], v[58:59], s[12:13], v[78:79]
	;; [unrolled: 1-line block ×3, first 2 shown]
	s_delay_alu instid0(VALU_DEP_4) | instskip(NEXT) | instid1(VALU_DEP_4)
	v_fma_f64 v[64:65], v[64:65], s[0:1], v[68:69]
	v_fma_f64 v[56:57], v[72:73], s[10:11], v[56:57]
	v_add_f64_e64 v[68:69], v[94:95], -v[100:101]
	v_fma_f64 v[78:79], v[72:73], s[10:11], v[78:79]
	v_fma_f64 v[74:75], v[70:71], s[10:11], v[74:75]
	;; [unrolled: 1-line block ×3, first 2 shown]
	v_add_f64_e64 v[64:65], v[104:105], -v[102:103]
	v_add_f64_e32 v[70:71], v[102:103], v[100:101]
	ds_store_2addr_b64 v164, v[74:75], v[78:79] offset0:102 offset1:119
	ds_store_2addr_b64 v164, v[56:57], v[58:59] offset0:136 offset1:153
	v_add_f64_e64 v[56:57], v[110:111], -v[126:127]
	v_add_f64_e32 v[64:65], v[64:65], v[68:69]
	v_add_f64_e32 v[68:69], v[139:140], v[104:105]
	v_fma_f64 v[70:71], v[70:71], -0.5, v[139:140]
	v_add_f64_e64 v[58:59], v[116:117], -v[106:107]
	v_add_f64_e32 v[74:75], v[104:105], v[94:95]
	v_add_f64_e64 v[78:79], v[96:97], -v[84:85]
	v_add_f64_e64 v[84:85], v[90:91], -v[92:93]
	v_add_f64_e32 v[68:69], v[68:69], v[102:103]
	v_fma_f64 v[72:73], v[56:57], s[14:15], v[70:71]
	s_delay_alu instid0(VALU_DEP_2) | instskip(NEXT) | instid1(VALU_DEP_2)
	v_add_f64_e32 v[68:69], v[68:69], v[100:101]
	v_fma_f64 v[72:73], v[58:59], s[12:13], v[72:73]
	s_delay_alu instid0(VALU_DEP_2) | instskip(NEXT) | instid1(VALU_DEP_2)
	v_add_f64_e32 v[68:69], v[68:69], v[94:95]
	v_fma_f64 v[72:73], v[64:65], s[10:11], v[72:73]
	ds_store_2addr_b64 v154, v[68:69], v[72:73] offset0:127 offset1:144
	v_add_f64_e64 v[68:69], v[102:103], -v[104:105]
	v_add_f64_e64 v[72:73], v[100:101], -v[94:95]
	;; [unrolled: 1-line block ×3, first 2 shown]
	s_delay_alu instid0(VALU_DEP_2) | instskip(SKIP_1) | instid1(VALU_DEP_3)
	v_add_f64_e32 v[68:69], v[68:69], v[72:73]
	v_fma_f64 v[72:73], v[74:75], -0.5, v[139:140]
	v_add_f64_e32 v[84:85], v[84:85], v[94:95]
	s_delay_alu instid0(VALU_DEP_2) | instskip(SKIP_1) | instid1(VALU_DEP_2)
	v_fma_f64 v[74:75], v[58:59], s[4:5], v[72:73]
	v_fma_f64 v[72:73], v[58:59], s[14:15], v[72:73]
	;; [unrolled: 1-line block ×3, first 2 shown]
	s_delay_alu instid0(VALU_DEP_2) | instskip(NEXT) | instid1(VALU_DEP_2)
	v_fma_f64 v[72:73], v[56:57], s[0:1], v[72:73]
	v_fma_f64 v[74:75], v[68:69], s[10:11], v[74:75]
	s_delay_alu instid0(VALU_DEP_2)
	v_fma_f64 v[68:69], v[68:69], s[10:11], v[72:73]
	v_add_f64_e32 v[72:73], v[90:91], v[76:77]
	ds_store_2addr_b64 v155, v[74:75], v[68:69] offset0:33 offset1:50
	v_add_f64_e32 v[68:69], v[92:93], v[80:81]
	v_add_f64_e32 v[74:75], v[141:142], v[90:91]
	v_fma_f64 v[72:73], v[72:73], -0.5, v[141:142]
	s_delay_alu instid0(VALU_DEP_3) | instskip(NEXT) | instid1(VALU_DEP_3)
	v_fma_f64 v[68:69], v[68:69], -0.5, v[141:142]
	v_add_f64_e32 v[74:75], v[74:75], v[92:93]
	s_delay_alu instid0(VALU_DEP_2) | instskip(NEXT) | instid1(VALU_DEP_2)
	v_fma_f64 v[94:95], v[78:79], s[14:15], v[68:69]
	v_add_f64_e32 v[74:75], v[74:75], v[80:81]
	s_delay_alu instid0(VALU_DEP_2) | instskip(NEXT) | instid1(VALU_DEP_2)
	v_fma_f64 v[94:95], v[82:83], s[12:13], v[94:95]
	v_add_f64_e32 v[74:75], v[74:75], v[76:77]
	v_add_f64_e64 v[76:77], v[80:81], -v[76:77]
	v_add_f64_e64 v[80:81], v[86:87], -v[54:55]
	s_delay_alu instid0(VALU_DEP_4) | instskip(NEXT) | instid1(VALU_DEP_2)
	v_fma_f64 v[94:95], v[84:85], s[10:11], v[94:95]
	v_add_f64_e32 v[66:67], v[66:67], v[80:81]
	ds_store_2addr_b64 v165, v[74:75], v[94:95] offset0:84 offset1:101
	v_add_f64_e64 v[74:75], v[92:93], -v[90:91]
	s_delay_alu instid0(VALU_DEP_1) | instskip(SKIP_2) | instid1(VALU_DEP_2)
	v_add_f64_e32 v[74:75], v[74:75], v[76:77]
	v_fma_f64 v[76:77], v[82:83], s[4:5], v[72:73]
	v_fma_f64 v[72:73], v[82:83], s[14:15], v[72:73]
	;; [unrolled: 1-line block ×3, first 2 shown]
	s_delay_alu instid0(VALU_DEP_2) | instskip(NEXT) | instid1(VALU_DEP_2)
	v_fma_f64 v[72:73], v[78:79], s[0:1], v[72:73]
	v_fma_f64 v[76:77], v[74:75], s[10:11], v[76:77]
	s_delay_alu instid0(VALU_DEP_2)
	v_fma_f64 v[72:73], v[74:75], s[10:11], v[72:73]
	v_add_f64_e32 v[74:75], v[50:51], v[86:87]
	ds_store_2addr_b64 v165, v[76:77], v[72:73] offset0:118 offset1:135
	v_add_f64_e32 v[76:77], v[137:138], v[50:51]
	v_add_f64_e32 v[72:73], v[62:63], v[54:55]
	v_fma_f64 v[74:75], v[74:75], -0.5, v[137:138]
	v_add_f64_e64 v[50:51], v[62:63], -v[50:51]
	s_delay_alu instid0(VALU_DEP_4) | instskip(NEXT) | instid1(VALU_DEP_4)
	v_add_f64_e32 v[76:77], v[76:77], v[62:63]
	v_fma_f64 v[72:73], v[72:73], -0.5, v[137:138]
	s_delay_alu instid0(VALU_DEP_4) | instskip(NEXT) | instid1(VALU_DEP_3)
	v_fma_f64 v[62:63], v[60:61], s[14:15], v[74:75]
	v_add_f64_e32 v[76:77], v[76:77], v[54:55]
	v_add_f64_e64 v[54:55], v[54:55], -v[86:87]
	s_delay_alu instid0(VALU_DEP_3) | instskip(SKIP_1) | instid1(VALU_DEP_4)
	v_fma_f64 v[62:63], v[52:53], s[0:1], v[62:63]
	v_fma_f64 v[80:81], v[52:53], s[14:15], v[72:73]
	v_add_f64_e32 v[76:77], v[76:77], v[86:87]
	s_delay_alu instid0(VALU_DEP_4) | instskip(SKIP_1) | instid1(VALU_DEP_4)
	v_add_f64_e32 v[50:51], v[50:51], v[54:55]
	v_fma_f64 v[54:55], v[60:61], s[4:5], v[74:75]
	v_fma_f64 v[80:81], v[60:61], s[12:13], v[80:81]
	s_delay_alu instid0(VALU_DEP_2) | instskip(NEXT) | instid1(VALU_DEP_2)
	v_fma_f64 v[54:55], v[52:53], s[12:13], v[54:55]
	v_fma_f64 v[80:81], v[66:67], s[10:11], v[80:81]
	s_delay_alu instid0(VALU_DEP_2)
	v_fma_f64 v[54:55], v[50:51], s[10:11], v[54:55]
	v_fma_f64 v[50:51], v[50:51], s[10:11], v[62:63]
	ds_store_2addr_b64 v147, v[76:77], v[80:81] offset0:170 offset1:187
	ds_store_2addr_b64 v147, v[54:55], v[50:51] offset0:204 offset1:221
	v_fma_f64 v[50:51], v[52:53], s[4:5], v[72:73]
	v_fma_f64 v[52:53], v[56:57], s[4:5], v[70:71]
	s_delay_alu instid0(VALU_DEP_2) | instskip(NEXT) | instid1(VALU_DEP_2)
	v_fma_f64 v[50:51], v[60:61], s[0:1], v[50:51]
	v_fma_f64 v[52:53], v[58:59], s[0:1], v[52:53]
	s_delay_alu instid0(VALU_DEP_2) | instskip(NEXT) | instid1(VALU_DEP_2)
	v_fma_f64 v[50:51], v[66:67], s[10:11], v[50:51]
	v_fma_f64 v[52:53], v[64:65], s[10:11], v[52:53]
	ds_store_b64 v147, v[50:51] offset:1904
	v_fma_f64 v[50:51], v[78:79], s[4:5], v[68:69]
	s_delay_alu instid0(VALU_DEP_1) | instskip(NEXT) | instid1(VALU_DEP_1)
	v_fma_f64 v[50:51], v[82:83], s[0:1], v[50:51]
	v_fma_f64 v[50:51], v[84:85], s[10:11], v[50:51]
	ds_store_b64 v153, v[52:53] offset:2584
	ds_store_b64 v158, v[50:51] offset:3264
	global_wb scope:SCOPE_SE
	s_wait_dscnt 0x0
	s_barrier_signal -1
	s_barrier_wait -1
	global_inv scope:SCOPE_SE
	s_and_saveexec_b32 s16, vcc_lo
	s_cbranch_execz .LBB0_20
; %bb.19:
	v_lshlrev_b32_e32 v158, 2, v134
	v_mul_lo_u32 v186, s2, v149
	v_mad_co_u64_u32 v[184:185], null, s2, v148, 0
	v_add_nc_u32_e32 v187, 17, v162
	s_delay_alu instid0(VALU_DEP_4)
	v_lshlrev_b64_e32 v[50:51], 4, v[158:159]
	v_lshlrev_b32_e32 v158, 2, v152
	v_add_nc_u32_e32 v188, 34, v162
	v_add_nc_u32_e32 v189, 51, v162
	v_mul_hi_u32 v177, 0xc0c0c0c1, v162
	v_add_nc_u32_e32 v190, 0x44, v162
	v_add_co_u32 v50, vcc_lo, s8, v50
	s_wait_alu 0xfffd
	v_add_co_ci_u32_e32 v51, vcc_lo, s9, v51, vcc_lo
	v_lshlrev_b64_e32 v[52:53], 4, v[158:159]
	v_lshlrev_b32_e32 v158, 2, v151
	s_clause 0x7
	global_load_b128 v[144:147], v[48:49], off offset:1136
	global_load_b128 v[136:139], v[50:51], off offset:1120
	;; [unrolled: 1-line block ×8, first 2 shown]
	v_add_co_u32 v48, vcc_lo, s8, v52
	s_wait_alu 0xfffd
	v_add_co_ci_u32_e32 v49, vcc_lo, s9, v53, vcc_lo
	s_clause 0x3
	global_load_b128 v[92:95], v[48:49], off offset:1104
	global_load_b128 v[84:87], v[48:49], off offset:1088
	;; [unrolled: 1-line block ×4, first 2 shown]
	v_lshlrev_b64_e32 v[50:51], 4, v[158:159]
	v_lshlrev_b32_e32 v158, 2, v150
	v_mul_hi_u32 v191, 0xc0c0c0c1, v187
	v_mul_hi_u32 v192, 0xc0c0c0c1, v188
	;; [unrolled: 1-line block ×4, first 2 shown]
	v_add_co_u32 v48, vcc_lo, s8, v50
	s_wait_alu 0xfffd
	v_add_co_ci_u32_e32 v49, vcc_lo, s9, v51, vcc_lo
	v_lshlrev_b64_e32 v[50:51], 4, v[158:159]
	s_clause 0x3
	global_load_b128 v[88:91], v[48:49], off offset:1104
	global_load_b128 v[72:75], v[48:49], off offset:1088
	global_load_b128 v[68:71], v[48:49], off offset:1136
	global_load_b128 v[96:99], v[48:49], off offset:1120
	v_mul_lo_u32 v158, s3, v148
	v_lshrrev_b32_e32 v194, 6, v177
	v_add_co_u32 v48, vcc_lo, s8, v50
	s_wait_alu 0xfffd
	v_add_co_ci_u32_e32 v49, vcc_lo, s9, v51, vcc_lo
	s_clause 0x3
	global_load_b128 v[64:67], v[48:49], off offset:1104
	global_load_b128 v[56:59], v[48:49], off offset:1088
	;; [unrolled: 1-line block ×4, first 2 shown]
	v_add3_u32 v185, v185, v186, v158
	v_lshrrev_b32_e32 v186, 6, v191
	v_lshrrev_b32_e32 v191, 6, v192
	;; [unrolled: 1-line block ×3, first 2 shown]
	v_lshlrev_b64_e32 v[156:157], 4, v[156:157]
	v_lshlrev_b64_e32 v[184:185], 4, v[184:185]
	v_mul_lo_u32 v158, 0x55, v194
	v_lshrrev_b32_e32 v193, 6, v195
	v_mul_lo_u32 v194, 0x55, v186
	v_mul_lo_u32 v195, 0x55, v191
	;; [unrolled: 1-line block ×3, first 2 shown]
	v_add_co_u32 v184, vcc_lo, s6, v184
	s_wait_alu 0xfffd
	v_add_co_ci_u32_e32 v185, vcc_lo, s7, v185, vcc_lo
	v_mul_lo_u32 v197, 0x55, v193
	s_delay_alu instid0(VALU_DEP_3) | instskip(SKIP_1) | instid1(VALU_DEP_3)
	v_add_co_u32 v253, vcc_lo, v184, v156
	s_wait_alu 0xfffd
	v_add_co_ci_u32_e32 v254, vcc_lo, v185, v157, vcc_lo
	v_sub_nc_u32_e32 v156, v187, v194
	v_sub_nc_u32_e32 v157, v188, v195
	v_sub_nc_u32_e32 v233, v162, v158
	v_sub_nc_u32_e32 v158, v189, v196
	v_sub_nc_u32_e32 v162, v190, v197
	v_add_nc_u32_e32 v176, 0x800, v164
	v_mad_co_u64_u32 v[184:185], null, 0x1a9, v186, v[156:157]
	s_delay_alu instid0(VALU_DEP_4)
	v_mad_co_u64_u32 v[156:157], null, 0x1a9, v191, v[157:158]
	v_mov_b32_e32 v185, v159
	v_mad_co_u64_u32 v[186:187], null, 0x1a9, v192, v[158:159]
	v_mad_co_u64_u32 v[188:189], null, 0x1a9, v193, v[162:163]
	v_mov_b32_e32 v189, v159
	v_mov_b32_e32 v157, v159
	ds_load_2addr_b64 v[148:151], v164 offset0:221 offset1:238
	ds_load_2addr_b64 v[152:155], v164 offset0:153 offset1:170
	;; [unrolled: 1-line block ×7, first 2 shown]
	v_add_nc_u32_e32 v180, 0x400, v164
	ds_load_2addr_b64 v[164:167], v176 offset0:67 offset1:84
	ds_load_2addr_b64 v[168:171], v176 offset0:135 offset1:152
	;; [unrolled: 1-line block ×3, first 2 shown]
	v_lshlrev_b64_e32 v[190:191], 4, v[184:185]
	v_dual_mov_b32 v187, v159 :: v_dual_add_nc_u32 v158, 0x55, v184
	v_lshlrev_b64_e32 v[192:193], 4, v[156:157]
	v_lshlrev_b64_e32 v[196:197], 4, v[188:189]
	ds_load_2addr_b64 v[176:179], v176 offset0:101 offset1:118
	ds_load_2addr_b64 v[180:183], v180 offset0:127 offset1:144
	v_lshlrev_b64_e32 v[194:195], 4, v[186:187]
	v_lshlrev_b64_e32 v[198:199], 4, v[158:159]
	v_add_nc_u32_e32 v158, 0xaa, v184
	v_add_co_u32 v189, vcc_lo, v253, v190
	s_wait_alu 0xfffd
	v_add_co_ci_u32_e32 v190, vcc_lo, v254, v191, vcc_lo
	v_add_co_u32 v191, vcc_lo, v253, v192
	s_wait_alu 0xfffd
	v_add_co_ci_u32_e32 v192, vcc_lo, v254, v193, vcc_lo
	v_lshlrev_b64_e32 v[200:201], 4, v[158:159]
	v_add_nc_u32_e32 v158, 0xff, v184
	v_add_co_u32 v193, vcc_lo, v253, v194
	s_wait_alu 0xfffd
	v_add_co_ci_u32_e32 v194, vcc_lo, v254, v195, vcc_lo
	v_add_co_u32 v195, vcc_lo, v253, v196
	v_lshlrev_b64_e32 v[202:203], 4, v[158:159]
	v_add_nc_u32_e32 v158, 0x154, v184
	s_wait_alu 0xfffd
	v_add_co_ci_u32_e32 v196, vcc_lo, v254, v197, vcc_lo
	v_add_co_u32 v197, vcc_lo, v253, v198
	s_wait_alu 0xfffd
	v_add_co_ci_u32_e32 v198, vcc_lo, v254, v199, vcc_lo
	v_add_co_u32 v184, vcc_lo, v253, v200
	v_lshlrev_b64_e32 v[199:200], 4, v[158:159]
	v_add_nc_u32_e32 v158, 0x55, v156
	s_wait_alu 0xfffd
	v_add_co_ci_u32_e32 v185, vcc_lo, v254, v201, vcc_lo
	v_add_co_u32 v201, vcc_lo, v253, v202
	s_wait_alu 0xfffd
	v_add_co_ci_u32_e32 v202, vcc_lo, v254, v203, vcc_lo
	v_lshlrev_b64_e32 v[203:204], 4, v[158:159]
	v_add_nc_u32_e32 v158, 0xaa, v156
	v_add_co_u32 v199, vcc_lo, v253, v199
	s_wait_alu 0xfffd
	v_add_co_ci_u32_e32 v200, vcc_lo, v254, v200, vcc_lo
	s_delay_alu instid0(VALU_DEP_3) | instskip(SKIP_4) | instid1(VALU_DEP_3)
	v_lshlrev_b64_e32 v[205:206], 4, v[158:159]
	v_add_nc_u32_e32 v158, 0xff, v156
	v_add_co_u32 v203, vcc_lo, v253, v203
	s_wait_alu 0xfffd
	v_add_co_ci_u32_e32 v204, vcc_lo, v254, v204, vcc_lo
	v_lshlrev_b64_e32 v[207:208], 4, v[158:159]
	v_add_nc_u32_e32 v158, 0x154, v156
	v_add_co_u32 v156, vcc_lo, v253, v205
	s_wait_alu 0xfffd
	v_add_co_ci_u32_e32 v157, vcc_lo, v254, v206, vcc_lo
	s_delay_alu instid0(VALU_DEP_3) | instskip(SKIP_4) | instid1(VALU_DEP_3)
	v_lshlrev_b64_e32 v[205:206], 4, v[158:159]
	v_add_nc_u32_e32 v158, 0x55, v186
	;; [unrolled: 11-line block ×4, first 2 shown]
	v_add_co_u32 v217, vcc_lo, v253, v217
	s_wait_alu 0xfffd
	v_add_co_ci_u32_e32 v218, vcc_lo, v254, v218, vcc_lo
	v_lshlrev_b64_e32 v[225:226], 4, v[158:159]
	v_add_co_u32 v221, vcc_lo, v253, v221
	s_wait_alu 0xfffd
	v_add_co_ci_u32_e32 v222, vcc_lo, v254, v222, vcc_lo
	v_add_nc_u32_e32 v158, 0xaa, v188
	s_wait_loadcnt 0x13
	v_mul_f64_e32 v[213:214], v[46:47], v[146:147]
	s_wait_dscnt 0x4
	v_mul_f64_e32 v[146:147], v[166:167], v[146:147]
	s_wait_loadcnt 0x12
	v_mul_f64_e32 v[215:216], v[44:45], v[138:139]
	v_mul_f64_e32 v[138:139], v[164:165], v[138:139]
	s_wait_loadcnt 0x11
	v_mul_f64_e32 v[186:187], v[42:43], v[142:143]
	;; [unrolled: 3-line block ×4, first 2 shown]
	s_wait_dscnt 0x0
	v_mul_f64_e32 v[126:127], v[180:181], v[126:127]
	s_wait_loadcnt 0xe
	v_mul_f64_e32 v[227:228], v[16:17], v[130:131]
	v_mul_f64_e32 v[130:131], v[108:109], v[130:131]
	s_wait_loadcnt 0xd
	v_mul_f64_e32 v[229:230], v[38:39], v[122:123]
	;; [unrolled: 3-line block ×3, first 2 shown]
	v_mul_f64_e32 v[118:119], v[170:171], v[118:119]
	v_fma_f64 v[166:167], v[166:167], v[144:145], -v[213:214]
	v_fma_f64 v[46:47], v[46:47], v[144:145], v[146:147]
	s_wait_loadcnt 0xb
	v_mul_f64_e32 v[144:145], v[36:37], v[94:95]
	s_wait_loadcnt 0xa
	v_mul_f64_e32 v[146:147], v[30:31], v[86:87]
	v_fma_f64 v[164:165], v[164:165], v[136:137], -v[215:216]
	s_wait_loadcnt 0x8
	v_mul_f64_e32 v[213:214], v[26:27], v[102:103]
	v_mul_f64_e32 v[215:216], v[32:33], v[82:83]
	v_mul_f64_e32 v[94:95], v[148:149], v[94:95]
	v_mul_f64_e32 v[102:103], v[174:175], v[102:103]
	v_mul_f64_e32 v[86:87], v[114:115], v[86:87]
	v_mul_f64_e32 v[82:83], v[168:169], v[82:83]
	v_fma_f64 v[44:45], v[44:45], v[136:137], v[138:139]
	v_fma_f64 v[136:137], v[154:155], v[140:141], -v[186:187]
	v_fma_f64 v[42:43], v[42:43], v[140:141], v[142:143]
	s_wait_loadcnt 0x7
	v_mul_f64_e32 v[138:139], v[22:23], v[90:91]
	s_wait_loadcnt 0x6
	v_mul_f64_e32 v[140:141], v[28:29], v[74:75]
	v_fma_f64 v[142:143], v[152:153], v[132:133], -v[219:220]
	s_wait_loadcnt 0x4
	v_mul_f64_e32 v[152:153], v[24:25], v[98:99]
	v_mul_f64_e32 v[154:155], v[14:15], v[70:71]
	v_fma_f64 v[40:41], v[40:41], v[132:133], v[134:135]
	v_mul_f64_e32 v[90:91], v[106:107], v[90:91]
	v_mul_f64_e32 v[98:99], v[172:173], v[98:99]
	;; [unrolled: 1-line block ×4, first 2 shown]
	v_fma_f64 v[132:133], v[180:181], v[124:125], -v[223:224]
	v_fma_f64 v[8:9], v[8:9], v[124:125], v[126:127]
	s_wait_loadcnt 0x3
	v_mul_f64_e32 v[124:125], v[20:21], v[66:67]
	s_wait_loadcnt 0x2
	v_mul_f64_e32 v[126:127], v[18:19], v[58:59]
	v_fma_f64 v[108:109], v[108:109], v[128:129], -v[227:228]
	v_fma_f64 v[16:17], v[16:17], v[128:129], v[130:131]
	s_wait_loadcnt 0x1
	v_mul_f64_e32 v[128:129], v[10:11], v[78:79]
	s_wait_loadcnt 0x0
	v_mul_f64_e32 v[130:131], v[12:13], v[62:63]
	v_fma_f64 v[134:135], v[150:151], v[120:121], -v[229:230]
	v_fma_f64 v[38:39], v[38:39], v[120:121], v[122:123]
	v_mul_f64_e32 v[66:67], v[104:105], v[66:67]
	v_mul_f64_e32 v[78:79], v[182:183], v[78:79]
	v_fma_f64 v[120:121], v[170:171], v[116:117], -v[231:232]
	v_fma_f64 v[34:35], v[34:35], v[116:117], v[118:119]
	v_mul_f64_e32 v[58:59], v[110:111], v[58:59]
	v_mul_f64_e32 v[62:63], v[176:177], v[62:63]
	v_fma_f64 v[116:117], v[148:149], v[92:93], -v[144:145]
	ds_load_b64 v[148:149], v163
	v_fma_f64 v[114:115], v[114:115], v[84:85], -v[146:147]
	v_fma_f64 v[146:147], v[174:175], v[100:101], -v[213:214]
	;; [unrolled: 1-line block ×3, first 2 shown]
	v_fma_f64 v[36:37], v[36:37], v[92:93], v[94:95]
	v_fma_f64 v[26:27], v[26:27], v[100:101], v[102:103]
	;; [unrolled: 1-line block ×4, first 2 shown]
	v_lshlrev_b32_e32 v150, 4, v233
	v_add_co_u32 v122, vcc_lo, v253, v225
	v_fma_f64 v[80:81], v[106:107], v[88:89], -v[138:139]
	v_fma_f64 v[82:83], v[112:113], v[72:73], -v[140:141]
	s_wait_alu 0xfffd
	v_add_co_ci_u32_e32 v123, vcc_lo, v254, v226, vcc_lo
	v_fma_f64 v[84:85], v[172:173], v[96:97], -v[152:153]
	v_fma_f64 v[86:87], v[178:179], v[68:69], -v[154:155]
	v_fma_f64 v[22:23], v[22:23], v[88:89], v[90:91]
	v_fma_f64 v[24:25], v[24:25], v[96:97], v[98:99]
	;; [unrolled: 1-line block ×4, first 2 shown]
	v_add_f64_e64 v[98:99], v[136:137], -v[132:133]
	v_add_f64_e64 v[92:93], v[8:9], -v[46:47]
	v_fma_f64 v[14:15], v[104:105], v[64:65], -v[124:125]
	v_fma_f64 v[70:71], v[110:111], v[56:57], -v[126:127]
	s_wait_dscnt 0x0
	v_add_f64_e32 v[88:89], v[108:109], v[148:149]
	v_add_f64_e64 v[90:91], v[42:43], -v[16:17]
	v_fma_f64 v[72:73], v[182:183], v[76:77], -v[128:129]
	v_fma_f64 v[74:75], v[176:177], v[60:61], -v[130:131]
	v_add_f64_e32 v[96:97], v[16:17], v[46:47]
	v_add_f64_e64 v[100:101], v[16:17], -v[42:43]
	v_fma_f64 v[20:21], v[20:21], v[64:65], v[66:67]
	v_fma_f64 v[10:11], v[10:11], v[76:77], v[78:79]
	v_add_f64_e64 v[64:65], v[16:17], -v[46:47]
	v_add_f64_e32 v[104:105], v[42:43], v[8:9]
	v_fma_f64 v[18:19], v[18:19], v[56:57], v[58:59]
	v_fma_f64 v[56:57], v[12:13], v[60:61], v[62:63]
	v_add_f64_e64 v[12:13], v[136:137], -v[108:109]
	v_add_f64_e64 v[58:59], v[132:133], -v[166:167]
	v_add_f64_e32 v[16:17], v[160:161], v[16:17]
	v_add_f64_e64 v[174:175], v[38:39], -v[40:41]
	v_add_f64_e64 v[176:177], v[44:45], -v[34:35]
	;; [unrolled: 1-line block ×4, first 2 shown]
	v_add_f64_e32 v[110:111], v[142:143], v[120:121]
	v_add_f64_e32 v[112:113], v[134:135], v[164:165]
	;; [unrolled: 1-line block ×8, first 2 shown]
	v_add_f64_e64 v[66:67], v[108:109], -v[136:137]
	v_add_f64_e64 v[76:77], v[166:167], -v[132:133]
	v_add_f64_e32 v[78:79], v[136:137], v[132:133]
	v_add_f64_e64 v[94:95], v[108:109], -v[166:167]
	v_add_f64_e64 v[102:103], v[46:47], -v[8:9]
	;; [unrolled: 1-line block ×9, first 2 shown]
	v_add_f64_e32 v[126:127], v[116:117], v[146:147]
	v_add_f64_e64 v[178:179], v[40:41], -v[38:39]
	v_add_f64_e64 v[180:181], v[34:35], -v[44:45]
	;; [unrolled: 1-line block ×6, first 2 shown]
	v_add_f64_e32 v[88:89], v[136:137], v[88:89]
	v_add_f64_e32 v[136:137], v[70:71], v[74:75]
	v_fma_f64 v[96:97], v[96:97], -0.5, v[160:161]
	v_fma_f64 v[104:105], v[104:105], -0.5, v[160:161]
	v_add_f64_e32 v[160:161], v[14:15], v[72:73]
	v_add_f64_e32 v[58:59], v[12:13], v[58:59]
	;; [unrolled: 1-line block ×11, first 2 shown]
	v_add_f64_e64 v[233:234], v[80:81], -v[82:83]
	v_add_f64_e64 v[235:236], v[84:85], -v[86:87]
	;; [unrolled: 1-line block ×3, first 2 shown]
	v_add_f64_e32 v[40:41], v[6:7], v[40:41]
	v_add_f64_e32 v[231:232], v[4:5], v[30:31]
	;; [unrolled: 1-line block ×4, first 2 shown]
	v_fma_f64 v[110:111], v[110:111], -0.5, v[54:55]
	v_fma_f64 v[54:55], v[112:113], -0.5, v[54:55]
	;; [unrolled: 1-line block ×3, first 2 shown]
	v_add_f64_e32 v[124:125], v[28:29], v[68:69]
	v_fma_f64 v[138:139], v[138:139], -0.5, v[6:7]
	v_fma_f64 v[6:7], v[140:141], -0.5, v[6:7]
	;; [unrolled: 1-line block ×4, first 2 shown]
	v_add_f64_e32 v[154:155], v[22:23], v[24:25]
	v_add_f64_e64 v[223:224], v[36:37], -v[30:31]
	v_add_f64_e64 v[225:226], v[26:27], -v[32:33]
	v_add_f64_e32 v[245:246], v[82:83], v[50:51]
	v_add_f64_e32 v[66:67], v[66:67], v[76:77]
	v_add_f64_e64 v[76:77], v[14:15], -v[70:71]
	v_fma_f64 v[62:63], v[62:63], -0.5, v[148:149]
	v_fma_f64 v[78:79], v[78:79], -0.5, v[148:149]
	v_add_f64_e64 v[148:149], v[72:73], -v[74:75]
	v_add_f64_e32 v[90:91], v[90:91], v[92:93]
	v_add_f64_e64 v[92:93], v[70:71], -v[14:15]
	v_add_f64_e32 v[100:101], v[100:101], v[102:103]
	;; [unrolled: 2-line block ×5, first 2 shown]
	v_add_f64_e32 v[215:216], v[0:1], v[18:19]
	v_add_f64_e64 v[247:248], v[22:23], -v[28:29]
	v_add_f64_e64 v[249:250], v[24:25], -v[68:69]
	v_fma_f64 v[52:53], v[126:127], -0.5, v[52:53]
	v_add_f64_e64 v[126:127], v[28:29], -v[22:23]
	v_add_f64_e64 v[152:153], v[68:69], -v[24:25]
	v_add_f64_e32 v[178:179], v[178:179], v[180:181]
	v_add_f64_e64 v[180:181], v[18:19], -v[20:21]
	v_add_f64_e32 v[227:228], v[227:228], v[229:230]
	v_add_f64_e64 v[229:230], v[22:23], -v[24:25]
	v_add_f64_e64 v[18:19], v[18:19], -v[56:57]
	;; [unrolled: 1-line block ×3, first 2 shown]
	v_add_f64_e32 v[239:240], v[239:240], v[241:242]
	v_add_f64_e64 v[241:242], v[14:15], -v[72:73]
	v_add_f64_e32 v[12:13], v[22:23], v[12:13]
	v_fma_f64 v[22:23], v[136:137], -0.5, v[48:49]
	v_fma_f64 v[48:49], v[160:161], -0.5, v[48:49]
	v_add_f64_e32 v[14:15], v[14:15], v[42:43]
	v_fma_f64 v[42:43], v[176:177], -0.5, v[0:1]
	v_fma_f64 v[0:1], v[186:187], -0.5, v[0:1]
	v_add_f64_e64 v[128:129], v[38:39], -v[44:45]
	v_add_f64_e32 v[172:173], v[134:135], v[172:173]
	v_add_f64_e64 v[134:135], v[134:135], -v[164:165]
	v_add_f64_e32 v[219:220], v[116:117], v[219:220]
	v_add_f64_e32 v[233:234], v[233:234], v[235:236]
	v_add_f64_e64 v[235:236], v[20:21], -v[10:11]
	v_add_f64_e64 v[142:143], v[142:143], -v[120:121]
	;; [unrolled: 1-line block ×4, first 2 shown]
	v_fma_f64 v[237:238], v[237:238], -0.5, v[50:51]
	v_fma_f64 v[50:51], v[243:244], -0.5, v[50:51]
	;; [unrolled: 1-line block ×4, first 2 shown]
	v_add_f64_e32 v[223:224], v[223:224], v[225:226]
	v_add_f64_e64 v[225:226], v[36:37], -v[26:27]
	v_add_f64_e32 v[36:37], v[36:37], v[231:232]
	v_add_f64_e64 v[231:232], v[80:81], -v[84:85]
	v_add_f64_e32 v[80:81], v[80:81], v[245:246]
	v_add_f64_e32 v[38:39], v[38:39], v[40:41]
	v_add_f64_e64 v[30:31], v[30:31], -v[32:33]
	v_add_f64_e64 v[114:115], v[114:115], -v[162:163]
	;; [unrolled: 1-line block ×4, first 2 shown]
	v_add_f64_e32 v[76:77], v[76:77], v[148:149]
	v_add_f64_e32 v[92:93], v[92:93], v[102:103]
	;; [unrolled: 1-line block ×3, first 2 shown]
	v_fma_f64 v[108:109], v[60:61], s[14:15], v[62:63]
	v_fma_f64 v[62:63], v[60:61], s[4:5], v[62:63]
	;; [unrolled: 1-line block ×4, first 2 shown]
	v_add_f64_e32 v[88:89], v[132:133], v[88:89]
	v_fma_f64 v[132:133], v[98:99], s[4:5], v[96:97]
	v_fma_f64 v[96:97], v[98:99], s[14:15], v[96:97]
	;; [unrolled: 1-line block ×4, first 2 shown]
	v_add_f64_e32 v[20:21], v[20:21], v[215:216]
	v_add_f64_e32 v[243:244], v[247:248], v[249:250]
	;; [unrolled: 1-line block ×3, first 2 shown]
	v_fma_f64 v[152:153], v[130:131], s[4:5], v[54:55]
	v_fma_f64 v[247:248], v[18:19], s[4:5], v[48:49]
	;; [unrolled: 1-line block ×3, first 2 shown]
	v_add_f64_e32 v[72:73], v[72:73], v[14:15]
	v_fma_f64 v[14:15], v[70:71], s[4:5], v[0:1]
	v_add_f64_e32 v[8:9], v[16:17], v[8:9]
	v_fma_f64 v[16:17], v[128:129], s[14:15], v[110:111]
	v_fma_f64 v[110:111], v[128:129], s[4:5], v[110:111]
	;; [unrolled: 1-line block ×3, first 2 shown]
	v_add_f64_e32 v[154:155], v[164:165], v[172:173]
	v_fma_f64 v[160:161], v[134:135], s[4:5], v[138:139]
	v_fma_f64 v[138:139], v[134:135], s[14:15], v[138:139]
	v_add_f64_e32 v[146:147], v[146:147], v[219:220]
	v_add_f64_e32 v[12:13], v[12:13], v[24:25]
	v_fma_f64 v[24:25], v[235:236], s[14:15], v[22:23]
	v_fma_f64 v[22:23], v[235:236], s[4:5], v[22:23]
	;; [unrolled: 1-line block ×10, first 2 shown]
	v_add_f64_e32 v[80:81], v[84:85], v[80:81]
	v_fma_f64 v[84:85], v[231:232], s[4:5], v[124:125]
	v_fma_f64 v[124:125], v[231:232], s[14:15], v[124:125]
	;; [unrolled: 1-line block ×3, first 2 shown]
	v_add_f64_e32 v[26:27], v[36:37], v[26:27]
	v_fma_f64 v[36:37], v[229:230], s[14:15], v[237:238]
	v_add_f64_e32 v[38:39], v[38:39], v[44:45]
	v_fma_f64 v[44:45], v[225:226], s[14:15], v[112:113]
	v_fma_f64 v[112:113], v[225:226], s[4:5], v[112:113]
	;; [unrolled: 1-line block ×8, first 2 shown]
	v_add_f64_e32 v[40:41], v[180:181], v[40:41]
	v_fma_f64 v[180:181], v[114:115], s[14:15], v[4:5]
	v_fma_f64 v[108:109], v[64:65], s[0:1], v[108:109]
	;; [unrolled: 1-line block ×5, first 2 shown]
	v_add_f64_e32 v[2:3], v[166:167], v[88:89]
	v_fma_f64 v[88:89], v[94:95], s[0:1], v[96:97]
	v_fma_f64 v[96:97], v[98:99], s[0:1], v[104:105]
	v_add_f64_e32 v[20:21], v[20:21], v[10:11]
	v_fma_f64 v[78:79], v[94:95], s[12:13], v[132:133]
	v_fma_f64 v[94:95], v[98:99], s[12:13], v[148:149]
	;; [unrolled: 1-line block ×7, first 2 shown]
	v_add_f64_e32 v[6:7], v[120:121], v[154:155]
	v_fma_f64 v[120:121], v[142:143], s[12:13], v[160:161]
	v_fma_f64 v[128:129], v[142:143], s[0:1], v[138:139]
	v_add_f64_e32 v[10:11], v[162:163], v[146:147]
	v_fma_f64 v[142:143], v[18:19], s[0:1], v[24:25]
	v_fma_f64 v[146:147], v[18:19], s[12:13], v[22:23]
	;; [unrolled: 1-line block ×6, first 2 shown]
	v_add_f64_e32 v[0:1], v[8:9], v[46:47]
	v_fma_f64 v[46:47], v[130:131], s[0:1], v[16:17]
	v_fma_f64 v[130:131], v[134:135], s[12:13], v[164:165]
	;; [unrolled: 1-line block ×19, first 2 shown]
	v_add_f64_e32 v[4:5], v[38:39], v[34:35]
	v_add_f64_e32 v[8:9], v[26:27], v[32:33]
	v_fma_f64 v[34:35], v[66:67], s[10:11], v[60:61]
	v_fma_f64 v[32:33], v[100:101], s[10:11], v[96:97]
	v_fma_f64 v[26:27], v[58:59], s[10:11], v[62:63]
	v_fma_f64 v[24:25], v[90:91], s[10:11], v[88:89]
	v_add_f64_e32 v[16:17], v[20:21], v[56:57]
	v_fma_f64 v[22:23], v[58:59], s[10:11], v[108:109]
	v_fma_f64 v[20:21], v[90:91], s[10:11], v[78:79]
	;; [unrolled: 1-line block ×4, first 2 shown]
	v_add_f64_e32 v[18:19], v[74:75], v[72:73]
	v_add_f64_e32 v[14:15], v[86:87], v[80:81]
	v_fma_f64 v[86:87], v[92:93], s[10:11], v[48:49]
	v_fma_f64 v[84:85], v[40:41], s[10:11], v[152:153]
	;; [unrolled: 1-line block ×8, first 2 shown]
	v_add_f64_e32 v[12:13], v[12:13], v[68:69]
	v_fma_f64 v[90:91], v[239:240], s[10:11], v[164:165]
	v_fma_f64 v[88:89], v[126:127], s[10:11], v[166:167]
	;; [unrolled: 1-line block ×16, first 2 shown]
	v_lshlrev_b64_e32 v[118:119], 4, v[158:159]
	v_add_nc_u32_e32 v158, 0xff, v188
	v_fma_f64 v[42:43], v[106:107], s[10:11], v[98:99]
	v_fma_f64 v[98:99], v[168:169], s[10:11], v[110:111]
	;; [unrolled: 1-line block ×8, first 2 shown]
	v_lshlrev_b64_e32 v[144:145], 4, v[158:159]
	v_add_nc_u32_e32 v158, 0x154, v188
	v_add_co_u32 v150, vcc_lo, v253, v150
	s_wait_alu 0xfffd
	v_add_co_ci_u32_e32 v151, vcc_lo, 0, v254, vcc_lo
	v_add_co_u32 v100, vcc_lo, v253, v118
	v_lshlrev_b64_e32 v[102:103], 4, v[158:159]
	s_wait_alu 0xfffd
	v_add_co_ci_u32_e32 v101, vcc_lo, v254, v119, vcc_lo
	v_add_co_u32 v104, vcc_lo, v253, v144
	s_wait_alu 0xfffd
	v_add_co_ci_u32_e32 v105, vcc_lo, v254, v145, vcc_lo
	v_add_co_u32 v102, vcc_lo, v253, v102
	s_wait_alu 0xfffd
	v_add_co_ci_u32_e32 v103, vcc_lo, v254, v103, vcc_lo
	s_clause 0x18
	global_store_b128 v[150:151], v[0:3], off
	global_store_b128 v[150:151], v[32:35], off offset:1360
	global_store_b128 v[150:151], v[24:27], off offset:2720
	;; [unrolled: 1-line block ×4, first 2 shown]
	global_store_b128 v[189:190], v[16:19], off
	global_store_b128 v[197:198], v[84:87], off
	;; [unrolled: 1-line block ×20, first 2 shown]
.LBB0_20:
	s_nop 0
	s_sendmsg sendmsg(MSG_DEALLOC_VGPRS)
	s_endpgm
	.section	.rodata,"a",@progbits
	.p2align	6, 0x0
	.amdhsa_kernel fft_rtc_back_len425_factors_17_5_5_wgs_51_tpt_17_halfLds_dp_op_CI_CI_unitstride_sbrr_dirReg
		.amdhsa_group_segment_fixed_size 0
		.amdhsa_private_segment_fixed_size 180
		.amdhsa_kernarg_size 104
		.amdhsa_user_sgpr_count 2
		.amdhsa_user_sgpr_dispatch_ptr 0
		.amdhsa_user_sgpr_queue_ptr 0
		.amdhsa_user_sgpr_kernarg_segment_ptr 1
		.amdhsa_user_sgpr_dispatch_id 0
		.amdhsa_user_sgpr_private_segment_size 0
		.amdhsa_wavefront_size32 1
		.amdhsa_uses_dynamic_stack 0
		.amdhsa_enable_private_segment 1
		.amdhsa_system_sgpr_workgroup_id_x 1
		.amdhsa_system_sgpr_workgroup_id_y 0
		.amdhsa_system_sgpr_workgroup_id_z 0
		.amdhsa_system_sgpr_workgroup_info 0
		.amdhsa_system_vgpr_workitem_id 0
		.amdhsa_next_free_vgpr 255
		.amdhsa_next_free_sgpr 58
		.amdhsa_reserve_vcc 1
		.amdhsa_float_round_mode_32 0
		.amdhsa_float_round_mode_16_64 0
		.amdhsa_float_denorm_mode_32 3
		.amdhsa_float_denorm_mode_16_64 3
		.amdhsa_fp16_overflow 0
		.amdhsa_workgroup_processor_mode 1
		.amdhsa_memory_ordered 1
		.amdhsa_forward_progress 0
		.amdhsa_round_robin_scheduling 0
		.amdhsa_exception_fp_ieee_invalid_op 0
		.amdhsa_exception_fp_denorm_src 0
		.amdhsa_exception_fp_ieee_div_zero 0
		.amdhsa_exception_fp_ieee_overflow 0
		.amdhsa_exception_fp_ieee_underflow 0
		.amdhsa_exception_fp_ieee_inexact 0
		.amdhsa_exception_int_div_zero 0
	.end_amdhsa_kernel
	.text
.Lfunc_end0:
	.size	fft_rtc_back_len425_factors_17_5_5_wgs_51_tpt_17_halfLds_dp_op_CI_CI_unitstride_sbrr_dirReg, .Lfunc_end0-fft_rtc_back_len425_factors_17_5_5_wgs_51_tpt_17_halfLds_dp_op_CI_CI_unitstride_sbrr_dirReg
                                        ; -- End function
	.section	.AMDGPU.csdata,"",@progbits
; Kernel info:
; codeLenInByte = 20572
; NumSgprs: 60
; NumVgprs: 255
; ScratchSize: 180
; MemoryBound: 1
; FloatMode: 240
; IeeeMode: 1
; LDSByteSize: 0 bytes/workgroup (compile time only)
; SGPRBlocks: 7
; VGPRBlocks: 31
; NumSGPRsForWavesPerEU: 60
; NumVGPRsForWavesPerEU: 255
; Occupancy: 5
; WaveLimiterHint : 1
; COMPUTE_PGM_RSRC2:SCRATCH_EN: 1
; COMPUTE_PGM_RSRC2:USER_SGPR: 2
; COMPUTE_PGM_RSRC2:TRAP_HANDLER: 0
; COMPUTE_PGM_RSRC2:TGID_X_EN: 1
; COMPUTE_PGM_RSRC2:TGID_Y_EN: 0
; COMPUTE_PGM_RSRC2:TGID_Z_EN: 0
; COMPUTE_PGM_RSRC2:TIDIG_COMP_CNT: 0
	.text
	.p2alignl 7, 3214868480
	.fill 96, 4, 3214868480
	.type	__hip_cuid_13c423d55d3bb00,@object ; @__hip_cuid_13c423d55d3bb00
	.section	.bss,"aw",@nobits
	.globl	__hip_cuid_13c423d55d3bb00
__hip_cuid_13c423d55d3bb00:
	.byte	0                               ; 0x0
	.size	__hip_cuid_13c423d55d3bb00, 1

	.ident	"AMD clang version 19.0.0git (https://github.com/RadeonOpenCompute/llvm-project roc-6.4.0 25133 c7fe45cf4b819c5991fe208aaa96edf142730f1d)"
	.section	".note.GNU-stack","",@progbits
	.addrsig
	.addrsig_sym __hip_cuid_13c423d55d3bb00
	.amdgpu_metadata
---
amdhsa.kernels:
  - .args:
      - .actual_access:  read_only
        .address_space:  global
        .offset:         0
        .size:           8
        .value_kind:     global_buffer
      - .offset:         8
        .size:           8
        .value_kind:     by_value
      - .actual_access:  read_only
        .address_space:  global
        .offset:         16
        .size:           8
        .value_kind:     global_buffer
      - .actual_access:  read_only
        .address_space:  global
        .offset:         24
        .size:           8
        .value_kind:     global_buffer
      - .actual_access:  read_only
        .address_space:  global
        .offset:         32
        .size:           8
        .value_kind:     global_buffer
      - .offset:         40
        .size:           8
        .value_kind:     by_value
      - .actual_access:  read_only
        .address_space:  global
        .offset:         48
        .size:           8
        .value_kind:     global_buffer
      - .actual_access:  read_only
        .address_space:  global
        .offset:         56
        .size:           8
        .value_kind:     global_buffer
      - .offset:         64
        .size:           4
        .value_kind:     by_value
      - .actual_access:  read_only
        .address_space:  global
        .offset:         72
        .size:           8
        .value_kind:     global_buffer
      - .actual_access:  read_only
        .address_space:  global
        .offset:         80
        .size:           8
        .value_kind:     global_buffer
      - .actual_access:  read_only
        .address_space:  global
        .offset:         88
        .size:           8
        .value_kind:     global_buffer
      - .actual_access:  write_only
        .address_space:  global
        .offset:         96
        .size:           8
        .value_kind:     global_buffer
    .group_segment_fixed_size: 0
    .kernarg_segment_align: 8
    .kernarg_segment_size: 104
    .language:       OpenCL C
    .language_version:
      - 2
      - 0
    .max_flat_workgroup_size: 51
    .name:           fft_rtc_back_len425_factors_17_5_5_wgs_51_tpt_17_halfLds_dp_op_CI_CI_unitstride_sbrr_dirReg
    .private_segment_fixed_size: 180
    .sgpr_count:     60
    .sgpr_spill_count: 0
    .symbol:         fft_rtc_back_len425_factors_17_5_5_wgs_51_tpt_17_halfLds_dp_op_CI_CI_unitstride_sbrr_dirReg.kd
    .uniform_work_group_size: 1
    .uses_dynamic_stack: false
    .vgpr_count:     255
    .vgpr_spill_count: 132
    .wavefront_size: 32
    .workgroup_processor_mode: 1
amdhsa.target:   amdgcn-amd-amdhsa--gfx1201
amdhsa.version:
  - 1
  - 2
...

	.end_amdgpu_metadata
